;; amdgpu-corpus repo=ROCm/rocSPARSE kind=compiled arch=gfx1250 opt=O3
	.amdgcn_target "amdgcn-amd-amdhsa--gfx1250"
	.amdhsa_code_object_version 6
	.section	.text._ZN9rocsparseL29gebsrmm_small_blockdim_kernelILi1ELi2ELi2ELi16EfEEv20rocsparse_direction_20rocsparse_operation_iiNS_24const_host_device_scalarIT3_EEPKiS7_PKS4_iiS9_lS5_PS4_l21rocsparse_index_base_b,"axG",@progbits,_ZN9rocsparseL29gebsrmm_small_blockdim_kernelILi1ELi2ELi2ELi16EfEEv20rocsparse_direction_20rocsparse_operation_iiNS_24const_host_device_scalarIT3_EEPKiS7_PKS4_iiS9_lS5_PS4_l21rocsparse_index_base_b,comdat
	.globl	_ZN9rocsparseL29gebsrmm_small_blockdim_kernelILi1ELi2ELi2ELi16EfEEv20rocsparse_direction_20rocsparse_operation_iiNS_24const_host_device_scalarIT3_EEPKiS7_PKS4_iiS9_lS5_PS4_l21rocsparse_index_base_b ; -- Begin function _ZN9rocsparseL29gebsrmm_small_blockdim_kernelILi1ELi2ELi2ELi16EfEEv20rocsparse_direction_20rocsparse_operation_iiNS_24const_host_device_scalarIT3_EEPKiS7_PKS4_iiS9_lS5_PS4_l21rocsparse_index_base_b
	.p2align	8
	.type	_ZN9rocsparseL29gebsrmm_small_blockdim_kernelILi1ELi2ELi2ELi16EfEEv20rocsparse_direction_20rocsparse_operation_iiNS_24const_host_device_scalarIT3_EEPKiS7_PKS4_iiS9_lS5_PS4_l21rocsparse_index_base_b,@function
_ZN9rocsparseL29gebsrmm_small_blockdim_kernelILi1ELi2ELi2ELi16EfEEv20rocsparse_direction_20rocsparse_operation_iiNS_24const_host_device_scalarIT3_EEPKiS7_PKS4_iiS9_lS5_PS4_l21rocsparse_index_base_b: ; @_ZN9rocsparseL29gebsrmm_small_blockdim_kernelILi1ELi2ELi2ELi16EfEEv20rocsparse_direction_20rocsparse_operation_iiNS_24const_host_device_scalarIT3_EEPKiS7_PKS4_iiS9_lS5_PS4_l21rocsparse_index_base_b
; %bb.0:
	s_clause 0x2
	s_load_b64 s[20:21], s[0:1], 0x60
	s_load_b64 s[6:7], s[0:1], 0x10
	s_load_b128 s[8:11], s[0:1], 0x40
	s_wait_kmcnt 0x0
	s_bitcmp1_b32 s21, 0
	s_cselect_b32 s2, -1, 0
	s_delay_alu instid0(SALU_CYCLE_1)
	s_and_b32 vcc_lo, exec_lo, s2
	s_xor_b32 s2, s2, -1
	s_cbranch_vccnz .LBB0_2
; %bb.1:
	s_load_b32 s6, s[6:7], 0x0
.LBB0_2:
	s_and_not1_b32 vcc_lo, exec_lo, s2
	s_cbranch_vccnz .LBB0_4
; %bb.3:
	s_load_b32 s10, s[10:11], 0x0
.LBB0_4:
	s_wait_kmcnt 0x0
	s_cmp_eq_f32 s6, 0
	s_mov_b32 s24, 0
	s_cselect_b32 s2, -1, 0
	s_cmp_eq_f32 s10, 1.0
	s_cselect_b32 s3, -1, 0
	s_delay_alu instid0(SALU_CYCLE_1) | instskip(NEXT) | instid1(SALU_CYCLE_1)
	s_and_b32 s2, s2, s3
	s_and_b32 vcc_lo, exec_lo, s2
	s_cbranch_vccnz .LBB0_21
; %bb.5:
	s_load_b96 s[16:18], s[0:1], 0x4
	s_bfe_u32 s2, ttmp6, 0x4000c
	s_and_b32 s3, ttmp6, 15
	s_add_co_i32 s2, s2, 1
	s_mov_b32 s11, 0
	s_mul_i32 s4, ttmp9, s2
	s_getreg_b32 s2, hwreg(HW_REG_IB_STS2, 6, 4)
	s_add_co_i32 s3, s3, s4
	s_cmp_eq_u32 s2, 0
	s_cselect_b32 s22, ttmp9, s3
	s_wait_kmcnt 0x0
	s_cmp_lt_i32 s22, s17
	s_cselect_b32 s7, -1, 0
	s_cmp_ge_i32 s22, s17
	s_cbranch_scc1 .LBB0_7
; %bb.6:
	s_load_b64 s[4:5], s[0:1], 0x18
	s_ashr_i32 s23, s22, 31
	s_delay_alu instid0(SALU_CYCLE_1)
	s_lshl_b64 s[12:13], s[22:23], 2
	s_wait_kmcnt 0x0
	s_add_nc_u64 s[4:5], s[4:5], s[12:13]
	s_load_b64 s[12:13], s[4:5], 0x0
	s_wait_kmcnt 0x0
	s_sub_co_i32 s24, s12, s20
	s_sub_co_i32 s11, s13, s20
.LBB0_7:
	s_bfe_u32 s3, ttmp6, 0x40010
	s_bfe_u32 s4, ttmp6, 0x40004
	s_add_co_i32 s3, s3, 1
	v_bfe_u32 v12, v0, 10, 10
	s_mul_i32 s3, ttmp7, s3
	v_and_b32_e32 v8, 0x3ff, v0
	s_add_co_i32 s4, s4, s3
	s_cmp_eq_u32 s2, 0
	v_mov_b32_e32 v3, 0
	s_cselect_b32 s2, ttmp7, s4
	s_cmp_ge_i32 s24, s11
	v_lshl_add_u32 v0, s2, 4, v12
	v_cmp_eq_u32_e64 s2, 0, v8
	s_delay_alu instid0(VALU_DEP_2)
	v_ashrrev_i32_e32 v1, 31, v0
	v_cmp_gt_i32_e64 s3, s18, v0
	s_cbranch_scc1 .LBB0_17
; %bb.8:
	v_mul_u64_e32 v[4:5], s[8:9], v[0:1]
	s_clause 0x1
	s_load_b64 s[26:27], s[0:1], 0x38
	s_load_b128 s[12:15], s[0:1], 0x20
	v_dual_mov_b32 v3, 0 :: v_dual_lshlrev_b32 v6, 1, v12
	v_cmp_gt_u32_e32 vcc_lo, 2, v8
	v_cmp_gt_u32_e64 s4, 2, v12
	v_lshlrev_b32_e32 v2, 2, v8
	s_delay_alu instid0(VALU_DEP_4)
	v_add_lshl_u32 v9, v6, v8, 2
	s_and_b32 s17, s3, vcc_lo
	s_and_b32 s18, s2, s4
	s_cmp_lg_u32 s16, 0x6f
	v_add_nc_u32_e32 v10, 0x80, v2
	s_cselect_b32 s16, -1, 0
	s_ashr_i32 s25, s24, 31
	v_add_nc_u32_e32 v11, 0x80, v9
	s_lshl_b64 s[4:5], s[24:25], 2
	s_wait_kmcnt 0x0
	s_add_nc_u64 s[4:5], s[12:13], s[4:5]
	v_lshl_add_u64 v[6:7], v[4:5], 2, s[26:27]
	v_lshl_add_u64 v[4:5], v[0:1], 2, s[26:27]
	s_delay_alu instid0(VALU_DEP_2)
	v_add_nc_u64_e32 v[6:7], v[6:7], v[2:3]
	v_lshlrev_b32_e32 v2, 3, v12
	v_lshl_add_u32 v12, s24, 1, v12
	s_branch .LBB0_10
.LBB0_9:                                ;   in Loop: Header=BB0_10 Depth=1
	s_or_b32 exec_lo, exec_lo, s12
	s_wait_dscnt 0x0
	; wave barrier
	ds_load_b64 v[14:15], v2
	ds_load_2addr_b32 v[16:17], v10 offset1:2
	s_add_co_i32 s24, s24, 1
	s_add_nc_u64 s[4:5], s[4:5], 4
	s_cmp_ge_i32 s24, s11
	s_wait_dscnt 0x0
	; wave barrier
	v_dual_fmac_f32 v3, v16, v14 :: v_dual_add_nc_u32 v12, 2, v12
	s_delay_alu instid0(VALU_DEP_1)
	v_fmac_f32_e32 v3, v17, v15
	s_cbranch_scc1 .LBB0_17
.LBB0_10:                               ; =>This Inner Loop Header: Depth=1
	v_mov_b32_e32 v13, 0
	s_and_saveexec_b32 s19, s17
	s_cbranch_execz .LBB0_15
; %bb.11:                               ;   in Loop: Header=BB0_10 Depth=1
	s_load_b32 s12, s[4:5], 0x0
	s_mov_b32 s13, -1
	s_and_b32 vcc_lo, exec_lo, s16
                                        ; implicit-def: $vgpr13
	s_wait_kmcnt 0x0
	s_sub_co_i32 s12, s12, s20
	s_delay_alu instid0(SALU_CYCLE_1)
	s_lshl_b32 s12, s12, 1
	s_cbranch_vccz .LBB0_13
; %bb.12:                               ;   in Loop: Header=BB0_10 Depth=1
	v_or_b32_e32 v14, s12, v8
	s_mov_b32 s13, 0
	s_delay_alu instid0(VALU_DEP_1) | instskip(NEXT) | instid1(VALU_DEP_1)
	v_ashrrev_i32_e32 v15, 31, v14
	v_mul_u64_e32 v[14:15], s[8:9], v[14:15]
	s_delay_alu instid0(VALU_DEP_1)
	v_lshl_add_u64 v[14:15], v[14:15], 2, v[4:5]
	global_load_b32 v13, v[14:15], off
.LBB0_13:                               ;   in Loop: Header=BB0_10 Depth=1
	s_and_not1_b32 vcc_lo, exec_lo, s13
	s_cbranch_vccnz .LBB0_15
; %bb.14:                               ;   in Loop: Header=BB0_10 Depth=1
	s_ashr_i32 s13, s12, 31
	s_wait_xcnt 0x0
	v_lshl_add_u64 v[14:15], s[12:13], 2, v[6:7]
	s_wait_loadcnt 0x0
	global_load_b32 v13, v[14:15], off
.LBB0_15:                               ;   in Loop: Header=BB0_10 Depth=1
	s_wait_xcnt 0x0
	s_or_b32 exec_lo, exec_lo, s19
	s_wait_loadcnt 0x0
	ds_store_b32 v9, v13
	s_and_saveexec_b32 s12, s18
	s_cbranch_execz .LBB0_9
; %bb.16:                               ;   in Loop: Header=BB0_10 Depth=1
	global_load_b32 v13, v12, s[14:15] scale_offset
	s_wait_loadcnt 0x0
	ds_store_b32 v11, v13
	s_branch .LBB0_9
.LBB0_17:
	s_load_b64 s[4:5], s[0:1], 0x50
	s_and_b32 s2, s2, s3
	s_delay_alu instid0(SALU_CYCLE_1) | instskip(NEXT) | instid1(SALU_CYCLE_1)
	s_and_b32 s2, s7, s2
	s_and_saveexec_b32 s3, s2
	s_cbranch_execz .LBB0_21
; %bb.18:
	s_wait_xcnt 0x0
	s_load_b64 s[0:1], s[0:1], 0x58
	s_cmp_neq_f32 s10, 0
	v_mul_f32_e32 v4, s6, v3
	s_wait_kmcnt 0x0
	v_mul_u64_e32 v[6:7], s[0:1], v[0:1]
	v_add_nc_u32_e32 v0, s22, v8
	s_mov_b32 s0, 0
	s_delay_alu instid0(VALU_DEP_1) | instskip(NEXT) | instid1(VALU_DEP_3)
	v_ashrrev_i32_e32 v1, 31, v0
	v_lshl_add_u64 v[2:3], v[6:7], 2, s[4:5]
	s_cbranch_scc0 .LBB0_22
; %bb.19:
	s_delay_alu instid0(VALU_DEP_1)
	v_lshl_add_u64 v[6:7], v[0:1], 2, v[2:3]
	global_load_b32 v5, v[6:7], off
	s_wait_loadcnt 0x0
	v_fma_f32 v5, s10, v5, v4
	global_store_b32 v[6:7], v5, off
	s_and_not1_b32 vcc_lo, exec_lo, s0
	s_cbranch_vccnz .LBB0_21
.LBB0_20:
	s_delay_alu instid0(VALU_DEP_1)
	v_lshl_add_u64 v[0:1], v[0:1], 2, v[2:3]
	global_store_b32 v[0:1], v4, off
.LBB0_21:
	s_endpgm
.LBB0_22:
	s_branch .LBB0_20
	.section	.rodata,"a",@progbits
	.p2align	6, 0x0
	.amdhsa_kernel _ZN9rocsparseL29gebsrmm_small_blockdim_kernelILi1ELi2ELi2ELi16EfEEv20rocsparse_direction_20rocsparse_operation_iiNS_24const_host_device_scalarIT3_EEPKiS7_PKS4_iiS9_lS5_PS4_l21rocsparse_index_base_b
		.amdhsa_group_segment_fixed_size 144
		.amdhsa_private_segment_fixed_size 0
		.amdhsa_kernarg_size 104
		.amdhsa_user_sgpr_count 2
		.amdhsa_user_sgpr_dispatch_ptr 0
		.amdhsa_user_sgpr_queue_ptr 0
		.amdhsa_user_sgpr_kernarg_segment_ptr 1
		.amdhsa_user_sgpr_dispatch_id 0
		.amdhsa_user_sgpr_kernarg_preload_length 0
		.amdhsa_user_sgpr_kernarg_preload_offset 0
		.amdhsa_user_sgpr_private_segment_size 0
		.amdhsa_wavefront_size32 1
		.amdhsa_uses_dynamic_stack 0
		.amdhsa_enable_private_segment 0
		.amdhsa_system_sgpr_workgroup_id_x 1
		.amdhsa_system_sgpr_workgroup_id_y 1
		.amdhsa_system_sgpr_workgroup_id_z 0
		.amdhsa_system_sgpr_workgroup_info 0
		.amdhsa_system_vgpr_workitem_id 1
		.amdhsa_next_free_vgpr 18
		.amdhsa_next_free_sgpr 28
		.amdhsa_named_barrier_count 0
		.amdhsa_reserve_vcc 1
		.amdhsa_float_round_mode_32 0
		.amdhsa_float_round_mode_16_64 0
		.amdhsa_float_denorm_mode_32 3
		.amdhsa_float_denorm_mode_16_64 3
		.amdhsa_fp16_overflow 0
		.amdhsa_memory_ordered 1
		.amdhsa_forward_progress 1
		.amdhsa_inst_pref_size 8
		.amdhsa_round_robin_scheduling 0
		.amdhsa_exception_fp_ieee_invalid_op 0
		.amdhsa_exception_fp_denorm_src 0
		.amdhsa_exception_fp_ieee_div_zero 0
		.amdhsa_exception_fp_ieee_overflow 0
		.amdhsa_exception_fp_ieee_underflow 0
		.amdhsa_exception_fp_ieee_inexact 0
		.amdhsa_exception_int_div_zero 0
	.end_amdhsa_kernel
	.section	.text._ZN9rocsparseL29gebsrmm_small_blockdim_kernelILi1ELi2ELi2ELi16EfEEv20rocsparse_direction_20rocsparse_operation_iiNS_24const_host_device_scalarIT3_EEPKiS7_PKS4_iiS9_lS5_PS4_l21rocsparse_index_base_b,"axG",@progbits,_ZN9rocsparseL29gebsrmm_small_blockdim_kernelILi1ELi2ELi2ELi16EfEEv20rocsparse_direction_20rocsparse_operation_iiNS_24const_host_device_scalarIT3_EEPKiS7_PKS4_iiS9_lS5_PS4_l21rocsparse_index_base_b,comdat
.Lfunc_end0:
	.size	_ZN9rocsparseL29gebsrmm_small_blockdim_kernelILi1ELi2ELi2ELi16EfEEv20rocsparse_direction_20rocsparse_operation_iiNS_24const_host_device_scalarIT3_EEPKiS7_PKS4_iiS9_lS5_PS4_l21rocsparse_index_base_b, .Lfunc_end0-_ZN9rocsparseL29gebsrmm_small_blockdim_kernelILi1ELi2ELi2ELi16EfEEv20rocsparse_direction_20rocsparse_operation_iiNS_24const_host_device_scalarIT3_EEPKiS7_PKS4_iiS9_lS5_PS4_l21rocsparse_index_base_b
                                        ; -- End function
	.set _ZN9rocsparseL29gebsrmm_small_blockdim_kernelILi1ELi2ELi2ELi16EfEEv20rocsparse_direction_20rocsparse_operation_iiNS_24const_host_device_scalarIT3_EEPKiS7_PKS4_iiS9_lS5_PS4_l21rocsparse_index_base_b.num_vgpr, 18
	.set _ZN9rocsparseL29gebsrmm_small_blockdim_kernelILi1ELi2ELi2ELi16EfEEv20rocsparse_direction_20rocsparse_operation_iiNS_24const_host_device_scalarIT3_EEPKiS7_PKS4_iiS9_lS5_PS4_l21rocsparse_index_base_b.num_agpr, 0
	.set _ZN9rocsparseL29gebsrmm_small_blockdim_kernelILi1ELi2ELi2ELi16EfEEv20rocsparse_direction_20rocsparse_operation_iiNS_24const_host_device_scalarIT3_EEPKiS7_PKS4_iiS9_lS5_PS4_l21rocsparse_index_base_b.numbered_sgpr, 28
	.set _ZN9rocsparseL29gebsrmm_small_blockdim_kernelILi1ELi2ELi2ELi16EfEEv20rocsparse_direction_20rocsparse_operation_iiNS_24const_host_device_scalarIT3_EEPKiS7_PKS4_iiS9_lS5_PS4_l21rocsparse_index_base_b.num_named_barrier, 0
	.set _ZN9rocsparseL29gebsrmm_small_blockdim_kernelILi1ELi2ELi2ELi16EfEEv20rocsparse_direction_20rocsparse_operation_iiNS_24const_host_device_scalarIT3_EEPKiS7_PKS4_iiS9_lS5_PS4_l21rocsparse_index_base_b.private_seg_size, 0
	.set _ZN9rocsparseL29gebsrmm_small_blockdim_kernelILi1ELi2ELi2ELi16EfEEv20rocsparse_direction_20rocsparse_operation_iiNS_24const_host_device_scalarIT3_EEPKiS7_PKS4_iiS9_lS5_PS4_l21rocsparse_index_base_b.uses_vcc, 1
	.set _ZN9rocsparseL29gebsrmm_small_blockdim_kernelILi1ELi2ELi2ELi16EfEEv20rocsparse_direction_20rocsparse_operation_iiNS_24const_host_device_scalarIT3_EEPKiS7_PKS4_iiS9_lS5_PS4_l21rocsparse_index_base_b.uses_flat_scratch, 0
	.set _ZN9rocsparseL29gebsrmm_small_blockdim_kernelILi1ELi2ELi2ELi16EfEEv20rocsparse_direction_20rocsparse_operation_iiNS_24const_host_device_scalarIT3_EEPKiS7_PKS4_iiS9_lS5_PS4_l21rocsparse_index_base_b.has_dyn_sized_stack, 0
	.set _ZN9rocsparseL29gebsrmm_small_blockdim_kernelILi1ELi2ELi2ELi16EfEEv20rocsparse_direction_20rocsparse_operation_iiNS_24const_host_device_scalarIT3_EEPKiS7_PKS4_iiS9_lS5_PS4_l21rocsparse_index_base_b.has_recursion, 0
	.set _ZN9rocsparseL29gebsrmm_small_blockdim_kernelILi1ELi2ELi2ELi16EfEEv20rocsparse_direction_20rocsparse_operation_iiNS_24const_host_device_scalarIT3_EEPKiS7_PKS4_iiS9_lS5_PS4_l21rocsparse_index_base_b.has_indirect_call, 0
	.section	.AMDGPU.csdata,"",@progbits
; Kernel info:
; codeLenInByte = 904
; TotalNumSgprs: 30
; NumVgprs: 18
; ScratchSize: 0
; MemoryBound: 0
; FloatMode: 240
; IeeeMode: 1
; LDSByteSize: 144 bytes/workgroup (compile time only)
; SGPRBlocks: 0
; VGPRBlocks: 1
; NumSGPRsForWavesPerEU: 30
; NumVGPRsForWavesPerEU: 18
; NamedBarCnt: 0
; Occupancy: 16
; WaveLimiterHint : 1
; COMPUTE_PGM_RSRC2:SCRATCH_EN: 0
; COMPUTE_PGM_RSRC2:USER_SGPR: 2
; COMPUTE_PGM_RSRC2:TRAP_HANDLER: 0
; COMPUTE_PGM_RSRC2:TGID_X_EN: 1
; COMPUTE_PGM_RSRC2:TGID_Y_EN: 1
; COMPUTE_PGM_RSRC2:TGID_Z_EN: 0
; COMPUTE_PGM_RSRC2:TIDIG_COMP_CNT: 1
	.section	.text._ZN9rocsparseL29gebsrmm_small_blockdim_kernelILi1ELi3ELi3ELi16EfEEv20rocsparse_direction_20rocsparse_operation_iiNS_24const_host_device_scalarIT3_EEPKiS7_PKS4_iiS9_lS5_PS4_l21rocsparse_index_base_b,"axG",@progbits,_ZN9rocsparseL29gebsrmm_small_blockdim_kernelILi1ELi3ELi3ELi16EfEEv20rocsparse_direction_20rocsparse_operation_iiNS_24const_host_device_scalarIT3_EEPKiS7_PKS4_iiS9_lS5_PS4_l21rocsparse_index_base_b,comdat
	.globl	_ZN9rocsparseL29gebsrmm_small_blockdim_kernelILi1ELi3ELi3ELi16EfEEv20rocsparse_direction_20rocsparse_operation_iiNS_24const_host_device_scalarIT3_EEPKiS7_PKS4_iiS9_lS5_PS4_l21rocsparse_index_base_b ; -- Begin function _ZN9rocsparseL29gebsrmm_small_blockdim_kernelILi1ELi3ELi3ELi16EfEEv20rocsparse_direction_20rocsparse_operation_iiNS_24const_host_device_scalarIT3_EEPKiS7_PKS4_iiS9_lS5_PS4_l21rocsparse_index_base_b
	.p2align	8
	.type	_ZN9rocsparseL29gebsrmm_small_blockdim_kernelILi1ELi3ELi3ELi16EfEEv20rocsparse_direction_20rocsparse_operation_iiNS_24const_host_device_scalarIT3_EEPKiS7_PKS4_iiS9_lS5_PS4_l21rocsparse_index_base_b,@function
_ZN9rocsparseL29gebsrmm_small_blockdim_kernelILi1ELi3ELi3ELi16EfEEv20rocsparse_direction_20rocsparse_operation_iiNS_24const_host_device_scalarIT3_EEPKiS7_PKS4_iiS9_lS5_PS4_l21rocsparse_index_base_b: ; @_ZN9rocsparseL29gebsrmm_small_blockdim_kernelILi1ELi3ELi3ELi16EfEEv20rocsparse_direction_20rocsparse_operation_iiNS_24const_host_device_scalarIT3_EEPKiS7_PKS4_iiS9_lS5_PS4_l21rocsparse_index_base_b
; %bb.0:
	s_clause 0x2
	s_load_b64 s[20:21], s[0:1], 0x60
	s_load_b64 s[6:7], s[0:1], 0x10
	s_load_b128 s[8:11], s[0:1], 0x40
	s_wait_kmcnt 0x0
	s_bitcmp1_b32 s21, 0
	s_cselect_b32 s2, -1, 0
	s_delay_alu instid0(SALU_CYCLE_1)
	s_and_b32 vcc_lo, exec_lo, s2
	s_xor_b32 s2, s2, -1
	s_cbranch_vccnz .LBB1_2
; %bb.1:
	s_load_b32 s6, s[6:7], 0x0
.LBB1_2:
	s_and_not1_b32 vcc_lo, exec_lo, s2
	s_cbranch_vccnz .LBB1_4
; %bb.3:
	s_load_b32 s10, s[10:11], 0x0
.LBB1_4:
	s_wait_kmcnt 0x0
	s_cmp_eq_f32 s6, 0
	s_mov_b32 s24, 0
	s_cselect_b32 s2, -1, 0
	s_cmp_eq_f32 s10, 1.0
	s_cselect_b32 s3, -1, 0
	s_delay_alu instid0(SALU_CYCLE_1) | instskip(NEXT) | instid1(SALU_CYCLE_1)
	s_and_b32 s2, s2, s3
	s_and_b32 vcc_lo, exec_lo, s2
	s_cbranch_vccnz .LBB1_21
; %bb.5:
	s_load_b96 s[16:18], s[0:1], 0x4
	s_bfe_u32 s2, ttmp6, 0x4000c
	s_and_b32 s3, ttmp6, 15
	s_add_co_i32 s2, s2, 1
	s_mov_b32 s11, 0
	s_mul_i32 s4, ttmp9, s2
	s_getreg_b32 s2, hwreg(HW_REG_IB_STS2, 6, 4)
	s_add_co_i32 s3, s3, s4
	s_cmp_eq_u32 s2, 0
	s_cselect_b32 s22, ttmp9, s3
	s_wait_kmcnt 0x0
	s_cmp_lt_i32 s22, s17
	s_cselect_b32 s7, -1, 0
	s_cmp_ge_i32 s22, s17
	s_cbranch_scc1 .LBB1_7
; %bb.6:
	s_load_b64 s[4:5], s[0:1], 0x18
	s_ashr_i32 s23, s22, 31
	s_delay_alu instid0(SALU_CYCLE_1)
	s_lshl_b64 s[12:13], s[22:23], 2
	s_wait_kmcnt 0x0
	s_add_nc_u64 s[4:5], s[4:5], s[12:13]
	s_load_b64 s[12:13], s[4:5], 0x0
	s_wait_kmcnt 0x0
	s_sub_co_i32 s24, s12, s20
	s_sub_co_i32 s11, s13, s20
.LBB1_7:
	s_bfe_u32 s3, ttmp6, 0x40010
	s_bfe_u32 s4, ttmp6, 0x40004
	s_add_co_i32 s3, s3, 1
	v_bfe_u32 v4, v0, 10, 10
	s_mul_i32 s3, ttmp7, s3
	v_and_b32_e32 v8, 0x3ff, v0
	s_add_co_i32 s4, s4, s3
	s_cmp_eq_u32 s2, 0
	v_mov_b32_e32 v3, 0
	s_cselect_b32 s2, ttmp7, s4
	s_cmp_ge_i32 s24, s11
	v_lshl_add_u32 v0, s2, 4, v4
	v_cmp_eq_u32_e64 s2, 0, v8
	s_delay_alu instid0(VALU_DEP_2)
	v_ashrrev_i32_e32 v1, 31, v0
	v_cmp_gt_i32_e64 s3, s18, v0
	s_cbranch_scc1 .LBB1_17
; %bb.8:
	v_mul_u64_e32 v[6:7], s[8:9], v[0:1]
	s_clause 0x1
	s_load_b64 s[26:27], s[0:1], 0x38
	s_load_b128 s[12:15], s[0:1], 0x20
	v_mul_u32_u24_e32 v12, 3, v4
	v_cmp_gt_u32_e32 vcc_lo, 3, v8
	v_cmp_gt_u32_e64 s4, 3, v4
	v_dual_mov_b32 v3, 0 :: v_dual_lshlrev_b32 v2, 2, v8
	v_mad_u32 v10, s24, 3, v4
	v_add_lshl_u32 v9, v12, v8, 2
	s_and_b32 s17, s3, vcc_lo
	s_and_b32 s18, s2, s4
	s_cmp_lg_u32 s16, 0x6f
	v_lshlrev_b32_e32 v12, 2, v12
	s_cselect_b32 s16, -1, 0
	s_ashr_i32 s25, s24, 31
	v_add_nc_u32_e32 v11, 0xc0, v9
	s_lshl_b64 s[4:5], s[24:25], 2
	s_wait_kmcnt 0x0
	v_lshl_add_u64 v[4:5], v[0:1], 2, s[26:27]
	s_add_nc_u64 s[4:5], s[12:13], s[4:5]
	v_lshl_add_u64 v[6:7], v[6:7], 2, s[26:27]
	s_delay_alu instid0(VALU_DEP_1)
	v_add_nc_u64_e32 v[6:7], v[6:7], v[2:3]
	v_add_nc_u32_e32 v2, 0xc0, v2
	s_branch .LBB1_10
.LBB1_9:                                ;   in Loop: Header=BB1_10 Depth=1
	s_or_b32 exec_lo, exec_lo, s12
	s_wait_dscnt 0x0
	s_barrier_signal -1
	s_barrier_wait -1
	ds_load_2addr_b32 v[14:15], v2 offset1:3
	ds_load_2addr_b32 v[16:17], v12 offset1:1
	ds_load_b32 v13, v12 offset:8
	ds_load_b32 v18, v2 offset:24
	s_add_co_i32 s24, s24, 1
	s_add_nc_u64 s[4:5], s[4:5], 4
	s_cmp_ge_i32 s24, s11
	s_wait_dscnt 0x0
	s_barrier_signal -1
	s_barrier_wait -1
	v_dual_fmac_f32 v3, v14, v16 :: v_dual_add_nc_u32 v10, 3, v10
	s_delay_alu instid0(VALU_DEP_1) | instskip(NEXT) | instid1(VALU_DEP_1)
	v_fmac_f32_e32 v3, v15, v17
	v_fmac_f32_e32 v3, v18, v13
	s_cbranch_scc1 .LBB1_17
.LBB1_10:                               ; =>This Inner Loop Header: Depth=1
	v_mov_b32_e32 v13, 0
	s_and_saveexec_b32 s19, s17
	s_cbranch_execz .LBB1_15
; %bb.11:                               ;   in Loop: Header=BB1_10 Depth=1
	s_load_b32 s12, s[4:5], 0x0
	s_mov_b32 s13, -1
	s_and_b32 vcc_lo, exec_lo, s16
                                        ; implicit-def: $vgpr13
	s_wait_kmcnt 0x0
	s_sub_co_i32 s12, s12, s20
	s_delay_alu instid0(SALU_CYCLE_1)
	s_mul_i32 s12, s12, 3
	s_cbranch_vccz .LBB1_13
; %bb.12:                               ;   in Loop: Header=BB1_10 Depth=1
	v_add_nc_u32_e32 v14, s12, v8
	s_mov_b32 s13, 0
	s_delay_alu instid0(VALU_DEP_1) | instskip(NEXT) | instid1(VALU_DEP_1)
	v_ashrrev_i32_e32 v15, 31, v14
	v_mul_u64_e32 v[14:15], s[8:9], v[14:15]
	s_delay_alu instid0(VALU_DEP_1)
	v_lshl_add_u64 v[14:15], v[14:15], 2, v[4:5]
	global_load_b32 v13, v[14:15], off
.LBB1_13:                               ;   in Loop: Header=BB1_10 Depth=1
	s_and_not1_b32 vcc_lo, exec_lo, s13
	s_cbranch_vccnz .LBB1_15
; %bb.14:                               ;   in Loop: Header=BB1_10 Depth=1
	s_ashr_i32 s13, s12, 31
	s_wait_xcnt 0x0
	v_lshl_add_u64 v[14:15], s[12:13], 2, v[6:7]
	s_wait_loadcnt 0x0
	global_load_b32 v13, v[14:15], off
.LBB1_15:                               ;   in Loop: Header=BB1_10 Depth=1
	s_wait_xcnt 0x0
	s_or_b32 exec_lo, exec_lo, s19
	s_wait_loadcnt 0x0
	ds_store_b32 v9, v13
	s_and_saveexec_b32 s12, s18
	s_cbranch_execz .LBB1_9
; %bb.16:                               ;   in Loop: Header=BB1_10 Depth=1
	global_load_b32 v13, v10, s[14:15] scale_offset
	s_wait_loadcnt 0x0
	ds_store_b32 v11, v13
	s_branch .LBB1_9
.LBB1_17:
	s_load_b64 s[4:5], s[0:1], 0x50
	s_and_b32 s2, s2, s3
	s_delay_alu instid0(SALU_CYCLE_1) | instskip(NEXT) | instid1(SALU_CYCLE_1)
	s_and_b32 s2, s7, s2
	s_and_saveexec_b32 s3, s2
	s_cbranch_execz .LBB1_21
; %bb.18:
	s_wait_xcnt 0x0
	s_load_b64 s[0:1], s[0:1], 0x58
	s_cmp_neq_f32 s10, 0
	v_mul_f32_e32 v4, s6, v3
	s_wait_kmcnt 0x0
	v_mul_u64_e32 v[6:7], s[0:1], v[0:1]
	v_add_nc_u32_e32 v0, s22, v8
	s_mov_b32 s0, 0
	s_delay_alu instid0(VALU_DEP_1) | instskip(NEXT) | instid1(VALU_DEP_3)
	v_ashrrev_i32_e32 v1, 31, v0
	v_lshl_add_u64 v[2:3], v[6:7], 2, s[4:5]
	s_cbranch_scc0 .LBB1_22
; %bb.19:
	s_delay_alu instid0(VALU_DEP_1)
	v_lshl_add_u64 v[6:7], v[0:1], 2, v[2:3]
	global_load_b32 v5, v[6:7], off
	s_wait_loadcnt 0x0
	v_fma_f32 v5, s10, v5, v4
	global_store_b32 v[6:7], v5, off
	s_and_not1_b32 vcc_lo, exec_lo, s0
	s_cbranch_vccnz .LBB1_21
.LBB1_20:
	s_delay_alu instid0(VALU_DEP_1)
	v_lshl_add_u64 v[0:1], v[0:1], 2, v[2:3]
	global_store_b32 v[0:1], v4, off
.LBB1_21:
	s_endpgm
.LBB1_22:
	s_branch .LBB1_20
	.section	.rodata,"a",@progbits
	.p2align	6, 0x0
	.amdhsa_kernel _ZN9rocsparseL29gebsrmm_small_blockdim_kernelILi1ELi3ELi3ELi16EfEEv20rocsparse_direction_20rocsparse_operation_iiNS_24const_host_device_scalarIT3_EEPKiS7_PKS4_iiS9_lS5_PS4_l21rocsparse_index_base_b
		.amdhsa_group_segment_fixed_size 228
		.amdhsa_private_segment_fixed_size 0
		.amdhsa_kernarg_size 104
		.amdhsa_user_sgpr_count 2
		.amdhsa_user_sgpr_dispatch_ptr 0
		.amdhsa_user_sgpr_queue_ptr 0
		.amdhsa_user_sgpr_kernarg_segment_ptr 1
		.amdhsa_user_sgpr_dispatch_id 0
		.amdhsa_user_sgpr_kernarg_preload_length 0
		.amdhsa_user_sgpr_kernarg_preload_offset 0
		.amdhsa_user_sgpr_private_segment_size 0
		.amdhsa_wavefront_size32 1
		.amdhsa_uses_dynamic_stack 0
		.amdhsa_enable_private_segment 0
		.amdhsa_system_sgpr_workgroup_id_x 1
		.amdhsa_system_sgpr_workgroup_id_y 1
		.amdhsa_system_sgpr_workgroup_id_z 0
		.amdhsa_system_sgpr_workgroup_info 0
		.amdhsa_system_vgpr_workitem_id 1
		.amdhsa_next_free_vgpr 19
		.amdhsa_next_free_sgpr 28
		.amdhsa_named_barrier_count 0
		.amdhsa_reserve_vcc 1
		.amdhsa_float_round_mode_32 0
		.amdhsa_float_round_mode_16_64 0
		.amdhsa_float_denorm_mode_32 3
		.amdhsa_float_denorm_mode_16_64 3
		.amdhsa_fp16_overflow 0
		.amdhsa_memory_ordered 1
		.amdhsa_forward_progress 1
		.amdhsa_inst_pref_size 8
		.amdhsa_round_robin_scheduling 0
		.amdhsa_exception_fp_ieee_invalid_op 0
		.amdhsa_exception_fp_denorm_src 0
		.amdhsa_exception_fp_ieee_div_zero 0
		.amdhsa_exception_fp_ieee_overflow 0
		.amdhsa_exception_fp_ieee_underflow 0
		.amdhsa_exception_fp_ieee_inexact 0
		.amdhsa_exception_int_div_zero 0
	.end_amdhsa_kernel
	.section	.text._ZN9rocsparseL29gebsrmm_small_blockdim_kernelILi1ELi3ELi3ELi16EfEEv20rocsparse_direction_20rocsparse_operation_iiNS_24const_host_device_scalarIT3_EEPKiS7_PKS4_iiS9_lS5_PS4_l21rocsparse_index_base_b,"axG",@progbits,_ZN9rocsparseL29gebsrmm_small_blockdim_kernelILi1ELi3ELi3ELi16EfEEv20rocsparse_direction_20rocsparse_operation_iiNS_24const_host_device_scalarIT3_EEPKiS7_PKS4_iiS9_lS5_PS4_l21rocsparse_index_base_b,comdat
.Lfunc_end1:
	.size	_ZN9rocsparseL29gebsrmm_small_blockdim_kernelILi1ELi3ELi3ELi16EfEEv20rocsparse_direction_20rocsparse_operation_iiNS_24const_host_device_scalarIT3_EEPKiS7_PKS4_iiS9_lS5_PS4_l21rocsparse_index_base_b, .Lfunc_end1-_ZN9rocsparseL29gebsrmm_small_blockdim_kernelILi1ELi3ELi3ELi16EfEEv20rocsparse_direction_20rocsparse_operation_iiNS_24const_host_device_scalarIT3_EEPKiS7_PKS4_iiS9_lS5_PS4_l21rocsparse_index_base_b
                                        ; -- End function
	.set _ZN9rocsparseL29gebsrmm_small_blockdim_kernelILi1ELi3ELi3ELi16EfEEv20rocsparse_direction_20rocsparse_operation_iiNS_24const_host_device_scalarIT3_EEPKiS7_PKS4_iiS9_lS5_PS4_l21rocsparse_index_base_b.num_vgpr, 19
	.set _ZN9rocsparseL29gebsrmm_small_blockdim_kernelILi1ELi3ELi3ELi16EfEEv20rocsparse_direction_20rocsparse_operation_iiNS_24const_host_device_scalarIT3_EEPKiS7_PKS4_iiS9_lS5_PS4_l21rocsparse_index_base_b.num_agpr, 0
	.set _ZN9rocsparseL29gebsrmm_small_blockdim_kernelILi1ELi3ELi3ELi16EfEEv20rocsparse_direction_20rocsparse_operation_iiNS_24const_host_device_scalarIT3_EEPKiS7_PKS4_iiS9_lS5_PS4_l21rocsparse_index_base_b.numbered_sgpr, 28
	.set _ZN9rocsparseL29gebsrmm_small_blockdim_kernelILi1ELi3ELi3ELi16EfEEv20rocsparse_direction_20rocsparse_operation_iiNS_24const_host_device_scalarIT3_EEPKiS7_PKS4_iiS9_lS5_PS4_l21rocsparse_index_base_b.num_named_barrier, 0
	.set _ZN9rocsparseL29gebsrmm_small_blockdim_kernelILi1ELi3ELi3ELi16EfEEv20rocsparse_direction_20rocsparse_operation_iiNS_24const_host_device_scalarIT3_EEPKiS7_PKS4_iiS9_lS5_PS4_l21rocsparse_index_base_b.private_seg_size, 0
	.set _ZN9rocsparseL29gebsrmm_small_blockdim_kernelILi1ELi3ELi3ELi16EfEEv20rocsparse_direction_20rocsparse_operation_iiNS_24const_host_device_scalarIT3_EEPKiS7_PKS4_iiS9_lS5_PS4_l21rocsparse_index_base_b.uses_vcc, 1
	.set _ZN9rocsparseL29gebsrmm_small_blockdim_kernelILi1ELi3ELi3ELi16EfEEv20rocsparse_direction_20rocsparse_operation_iiNS_24const_host_device_scalarIT3_EEPKiS7_PKS4_iiS9_lS5_PS4_l21rocsparse_index_base_b.uses_flat_scratch, 0
	.set _ZN9rocsparseL29gebsrmm_small_blockdim_kernelILi1ELi3ELi3ELi16EfEEv20rocsparse_direction_20rocsparse_operation_iiNS_24const_host_device_scalarIT3_EEPKiS7_PKS4_iiS9_lS5_PS4_l21rocsparse_index_base_b.has_dyn_sized_stack, 0
	.set _ZN9rocsparseL29gebsrmm_small_blockdim_kernelILi1ELi3ELi3ELi16EfEEv20rocsparse_direction_20rocsparse_operation_iiNS_24const_host_device_scalarIT3_EEPKiS7_PKS4_iiS9_lS5_PS4_l21rocsparse_index_base_b.has_recursion, 0
	.set _ZN9rocsparseL29gebsrmm_small_blockdim_kernelILi1ELi3ELi3ELi16EfEEv20rocsparse_direction_20rocsparse_operation_iiNS_24const_host_device_scalarIT3_EEPKiS7_PKS4_iiS9_lS5_PS4_l21rocsparse_index_base_b.has_indirect_call, 0
	.section	.AMDGPU.csdata,"",@progbits
; Kernel info:
; codeLenInByte = 936
; TotalNumSgprs: 30
; NumVgprs: 19
; ScratchSize: 0
; MemoryBound: 0
; FloatMode: 240
; IeeeMode: 1
; LDSByteSize: 228 bytes/workgroup (compile time only)
; SGPRBlocks: 0
; VGPRBlocks: 1
; NumSGPRsForWavesPerEU: 30
; NumVGPRsForWavesPerEU: 19
; NamedBarCnt: 0
; Occupancy: 16
; WaveLimiterHint : 1
; COMPUTE_PGM_RSRC2:SCRATCH_EN: 0
; COMPUTE_PGM_RSRC2:USER_SGPR: 2
; COMPUTE_PGM_RSRC2:TRAP_HANDLER: 0
; COMPUTE_PGM_RSRC2:TGID_X_EN: 1
; COMPUTE_PGM_RSRC2:TGID_Y_EN: 1
; COMPUTE_PGM_RSRC2:TGID_Z_EN: 0
; COMPUTE_PGM_RSRC2:TIDIG_COMP_CNT: 1
	.section	.text._ZN9rocsparseL29gebsrmm_small_blockdim_kernelILi1ELi4ELi4ELi16EfEEv20rocsparse_direction_20rocsparse_operation_iiNS_24const_host_device_scalarIT3_EEPKiS7_PKS4_iiS9_lS5_PS4_l21rocsparse_index_base_b,"axG",@progbits,_ZN9rocsparseL29gebsrmm_small_blockdim_kernelILi1ELi4ELi4ELi16EfEEv20rocsparse_direction_20rocsparse_operation_iiNS_24const_host_device_scalarIT3_EEPKiS7_PKS4_iiS9_lS5_PS4_l21rocsparse_index_base_b,comdat
	.globl	_ZN9rocsparseL29gebsrmm_small_blockdim_kernelILi1ELi4ELi4ELi16EfEEv20rocsparse_direction_20rocsparse_operation_iiNS_24const_host_device_scalarIT3_EEPKiS7_PKS4_iiS9_lS5_PS4_l21rocsparse_index_base_b ; -- Begin function _ZN9rocsparseL29gebsrmm_small_blockdim_kernelILi1ELi4ELi4ELi16EfEEv20rocsparse_direction_20rocsparse_operation_iiNS_24const_host_device_scalarIT3_EEPKiS7_PKS4_iiS9_lS5_PS4_l21rocsparse_index_base_b
	.p2align	8
	.type	_ZN9rocsparseL29gebsrmm_small_blockdim_kernelILi1ELi4ELi4ELi16EfEEv20rocsparse_direction_20rocsparse_operation_iiNS_24const_host_device_scalarIT3_EEPKiS7_PKS4_iiS9_lS5_PS4_l21rocsparse_index_base_b,@function
_ZN9rocsparseL29gebsrmm_small_blockdim_kernelILi1ELi4ELi4ELi16EfEEv20rocsparse_direction_20rocsparse_operation_iiNS_24const_host_device_scalarIT3_EEPKiS7_PKS4_iiS9_lS5_PS4_l21rocsparse_index_base_b: ; @_ZN9rocsparseL29gebsrmm_small_blockdim_kernelILi1ELi4ELi4ELi16EfEEv20rocsparse_direction_20rocsparse_operation_iiNS_24const_host_device_scalarIT3_EEPKiS7_PKS4_iiS9_lS5_PS4_l21rocsparse_index_base_b
; %bb.0:
	s_clause 0x2
	s_load_b64 s[20:21], s[0:1], 0x60
	s_load_b64 s[6:7], s[0:1], 0x10
	s_load_b128 s[8:11], s[0:1], 0x40
	s_wait_kmcnt 0x0
	s_bitcmp1_b32 s21, 0
	s_cselect_b32 s2, -1, 0
	s_delay_alu instid0(SALU_CYCLE_1)
	s_and_b32 vcc_lo, exec_lo, s2
	s_xor_b32 s2, s2, -1
	s_cbranch_vccnz .LBB2_2
; %bb.1:
	s_load_b32 s6, s[6:7], 0x0
.LBB2_2:
	s_and_not1_b32 vcc_lo, exec_lo, s2
	s_cbranch_vccnz .LBB2_4
; %bb.3:
	s_load_b32 s10, s[10:11], 0x0
.LBB2_4:
	s_wait_kmcnt 0x0
	s_cmp_eq_f32 s6, 0
	s_mov_b32 s24, 0
	s_cselect_b32 s2, -1, 0
	s_cmp_eq_f32 s10, 1.0
	s_cselect_b32 s3, -1, 0
	s_delay_alu instid0(SALU_CYCLE_1) | instskip(NEXT) | instid1(SALU_CYCLE_1)
	s_and_b32 s2, s2, s3
	s_and_b32 vcc_lo, exec_lo, s2
	s_cbranch_vccnz .LBB2_21
; %bb.5:
	s_load_b96 s[16:18], s[0:1], 0x4
	s_bfe_u32 s2, ttmp6, 0x4000c
	s_and_b32 s3, ttmp6, 15
	s_add_co_i32 s2, s2, 1
	s_mov_b32 s11, 0
	s_mul_i32 s4, ttmp9, s2
	s_getreg_b32 s2, hwreg(HW_REG_IB_STS2, 6, 4)
	s_add_co_i32 s3, s3, s4
	s_cmp_eq_u32 s2, 0
	s_cselect_b32 s22, ttmp9, s3
	s_wait_kmcnt 0x0
	s_cmp_lt_i32 s22, s17
	s_cselect_b32 s7, -1, 0
	s_cmp_ge_i32 s22, s17
	s_cbranch_scc1 .LBB2_7
; %bb.6:
	s_load_b64 s[4:5], s[0:1], 0x18
	s_ashr_i32 s23, s22, 31
	s_delay_alu instid0(SALU_CYCLE_1)
	s_lshl_b64 s[12:13], s[22:23], 2
	s_wait_kmcnt 0x0
	s_add_nc_u64 s[4:5], s[4:5], s[12:13]
	s_load_b64 s[12:13], s[4:5], 0x0
	s_wait_kmcnt 0x0
	s_sub_co_i32 s24, s12, s20
	s_sub_co_i32 s11, s13, s20
.LBB2_7:
	s_bfe_u32 s3, ttmp6, 0x40010
	s_bfe_u32 s4, ttmp6, 0x40004
	s_add_co_i32 s3, s3, 1
	v_bfe_u32 v12, v0, 10, 10
	s_mul_i32 s3, ttmp7, s3
	v_and_b32_e32 v8, 0x3ff, v0
	s_add_co_i32 s4, s4, s3
	s_cmp_eq_u32 s2, 0
	v_mov_b32_e32 v3, 0
	s_cselect_b32 s2, ttmp7, s4
	s_cmp_ge_i32 s24, s11
	v_lshl_add_u32 v0, s2, 4, v12
	v_cmp_eq_u32_e64 s2, 0, v8
	s_delay_alu instid0(VALU_DEP_2)
	v_ashrrev_i32_e32 v1, 31, v0
	v_cmp_gt_i32_e64 s3, s18, v0
	s_cbranch_scc1 .LBB2_17
; %bb.8:
	v_mul_u64_e32 v[4:5], s[8:9], v[0:1]
	s_clause 0x1
	s_load_b64 s[26:27], s[0:1], 0x38
	s_load_b128 s[12:15], s[0:1], 0x20
	v_dual_mov_b32 v3, 0 :: v_dual_lshlrev_b32 v6, 2, v12
	v_cmp_gt_u32_e32 vcc_lo, 4, v8
	v_cmp_gt_u32_e64 s4, 4, v12
	v_lshlrev_b32_e32 v2, 2, v8
	s_delay_alu instid0(VALU_DEP_4)
	v_add_lshl_u32 v9, v6, v8, 2
	s_and_b32 s17, s3, vcc_lo
	s_and_b32 s18, s2, s4
	s_cmp_lg_u32 s16, 0x6f
	v_add_nc_u32_e32 v10, 0x100, v2
	s_cselect_b32 s16, -1, 0
	s_ashr_i32 s25, s24, 31
	v_add_nc_u32_e32 v11, 0x100, v9
	s_lshl_b64 s[4:5], s[24:25], 2
	s_wait_kmcnt 0x0
	s_add_nc_u64 s[4:5], s[12:13], s[4:5]
	v_lshl_add_u64 v[6:7], v[4:5], 2, s[26:27]
	v_lshl_add_u64 v[4:5], v[0:1], 2, s[26:27]
	s_delay_alu instid0(VALU_DEP_2)
	v_add_nc_u64_e32 v[6:7], v[6:7], v[2:3]
	v_lshlrev_b32_e32 v2, 4, v12
	v_lshl_add_u32 v12, s24, 2, v12
	s_branch .LBB2_10
.LBB2_9:                                ;   in Loop: Header=BB2_10 Depth=1
	s_or_b32 exec_lo, exec_lo, s12
	s_wait_dscnt 0x0
	s_barrier_signal -1
	s_barrier_wait -1
	ds_load_b128 v[14:17], v2
	ds_load_2addr_b32 v[18:19], v10 offset1:4
	ds_load_2addr_b32 v[20:21], v10 offset0:8 offset1:12
	s_add_co_i32 s24, s24, 1
	s_add_nc_u64 s[4:5], s[4:5], 4
	s_cmp_ge_i32 s24, s11
	s_wait_dscnt 0x0
	s_barrier_signal -1
	s_barrier_wait -1
	v_dual_fmac_f32 v3, v18, v14 :: v_dual_add_nc_u32 v12, 4, v12
	s_delay_alu instid0(VALU_DEP_1) | instskip(NEXT) | instid1(VALU_DEP_1)
	v_fmac_f32_e32 v3, v19, v15
	v_fmac_f32_e32 v3, v20, v16
	s_delay_alu instid0(VALU_DEP_1)
	v_fmac_f32_e32 v3, v21, v17
	s_cbranch_scc1 .LBB2_17
.LBB2_10:                               ; =>This Inner Loop Header: Depth=1
	v_mov_b32_e32 v13, 0
	s_and_saveexec_b32 s19, s17
	s_cbranch_execz .LBB2_15
; %bb.11:                               ;   in Loop: Header=BB2_10 Depth=1
	s_load_b32 s12, s[4:5], 0x0
	s_mov_b32 s13, -1
	s_and_b32 vcc_lo, exec_lo, s16
                                        ; implicit-def: $vgpr13
	s_wait_kmcnt 0x0
	s_sub_co_i32 s12, s12, s20
	s_delay_alu instid0(SALU_CYCLE_1)
	s_lshl_b32 s12, s12, 2
	s_cbranch_vccz .LBB2_13
; %bb.12:                               ;   in Loop: Header=BB2_10 Depth=1
	v_or_b32_e32 v14, s12, v8
	s_mov_b32 s13, 0
	s_delay_alu instid0(VALU_DEP_1) | instskip(NEXT) | instid1(VALU_DEP_1)
	v_ashrrev_i32_e32 v15, 31, v14
	v_mul_u64_e32 v[14:15], s[8:9], v[14:15]
	s_delay_alu instid0(VALU_DEP_1)
	v_lshl_add_u64 v[14:15], v[14:15], 2, v[4:5]
	global_load_b32 v13, v[14:15], off
.LBB2_13:                               ;   in Loop: Header=BB2_10 Depth=1
	s_and_not1_b32 vcc_lo, exec_lo, s13
	s_cbranch_vccnz .LBB2_15
; %bb.14:                               ;   in Loop: Header=BB2_10 Depth=1
	s_ashr_i32 s13, s12, 31
	s_wait_xcnt 0x0
	v_lshl_add_u64 v[14:15], s[12:13], 2, v[6:7]
	s_wait_loadcnt 0x0
	global_load_b32 v13, v[14:15], off
.LBB2_15:                               ;   in Loop: Header=BB2_10 Depth=1
	s_wait_xcnt 0x0
	s_or_b32 exec_lo, exec_lo, s19
	s_wait_loadcnt 0x0
	ds_store_b32 v9, v13
	s_and_saveexec_b32 s12, s18
	s_cbranch_execz .LBB2_9
; %bb.16:                               ;   in Loop: Header=BB2_10 Depth=1
	global_load_b32 v13, v12, s[14:15] scale_offset
	s_wait_loadcnt 0x0
	ds_store_b32 v11, v13
	s_branch .LBB2_9
.LBB2_17:
	s_load_b64 s[4:5], s[0:1], 0x50
	s_and_b32 s2, s2, s3
	s_delay_alu instid0(SALU_CYCLE_1) | instskip(NEXT) | instid1(SALU_CYCLE_1)
	s_and_b32 s2, s7, s2
	s_and_saveexec_b32 s3, s2
	s_cbranch_execz .LBB2_21
; %bb.18:
	s_wait_xcnt 0x0
	s_load_b64 s[0:1], s[0:1], 0x58
	s_cmp_neq_f32 s10, 0
	v_mul_f32_e32 v4, s6, v3
	s_wait_kmcnt 0x0
	v_mul_u64_e32 v[6:7], s[0:1], v[0:1]
	v_add_nc_u32_e32 v0, s22, v8
	s_mov_b32 s0, 0
	s_delay_alu instid0(VALU_DEP_1) | instskip(NEXT) | instid1(VALU_DEP_3)
	v_ashrrev_i32_e32 v1, 31, v0
	v_lshl_add_u64 v[2:3], v[6:7], 2, s[4:5]
	s_cbranch_scc0 .LBB2_22
; %bb.19:
	s_delay_alu instid0(VALU_DEP_1)
	v_lshl_add_u64 v[6:7], v[0:1], 2, v[2:3]
	global_load_b32 v5, v[6:7], off
	s_wait_loadcnt 0x0
	v_fma_f32 v5, s10, v5, v4
	global_store_b32 v[6:7], v5, off
	s_and_not1_b32 vcc_lo, exec_lo, s0
	s_cbranch_vccnz .LBB2_21
.LBB2_20:
	s_delay_alu instid0(VALU_DEP_1)
	v_lshl_add_u64 v[0:1], v[0:1], 2, v[2:3]
	global_store_b32 v[0:1], v4, off
.LBB2_21:
	s_endpgm
.LBB2_22:
	s_branch .LBB2_20
	.section	.rodata,"a",@progbits
	.p2align	6, 0x0
	.amdhsa_kernel _ZN9rocsparseL29gebsrmm_small_blockdim_kernelILi1ELi4ELi4ELi16EfEEv20rocsparse_direction_20rocsparse_operation_iiNS_24const_host_device_scalarIT3_EEPKiS7_PKS4_iiS9_lS5_PS4_l21rocsparse_index_base_b
		.amdhsa_group_segment_fixed_size 320
		.amdhsa_private_segment_fixed_size 0
		.amdhsa_kernarg_size 104
		.amdhsa_user_sgpr_count 2
		.amdhsa_user_sgpr_dispatch_ptr 0
		.amdhsa_user_sgpr_queue_ptr 0
		.amdhsa_user_sgpr_kernarg_segment_ptr 1
		.amdhsa_user_sgpr_dispatch_id 0
		.amdhsa_user_sgpr_kernarg_preload_length 0
		.amdhsa_user_sgpr_kernarg_preload_offset 0
		.amdhsa_user_sgpr_private_segment_size 0
		.amdhsa_wavefront_size32 1
		.amdhsa_uses_dynamic_stack 0
		.amdhsa_enable_private_segment 0
		.amdhsa_system_sgpr_workgroup_id_x 1
		.amdhsa_system_sgpr_workgroup_id_y 1
		.amdhsa_system_sgpr_workgroup_id_z 0
		.amdhsa_system_sgpr_workgroup_info 0
		.amdhsa_system_vgpr_workitem_id 1
		.amdhsa_next_free_vgpr 22
		.amdhsa_next_free_sgpr 28
		.amdhsa_named_barrier_count 0
		.amdhsa_reserve_vcc 1
		.amdhsa_float_round_mode_32 0
		.amdhsa_float_round_mode_16_64 0
		.amdhsa_float_denorm_mode_32 3
		.amdhsa_float_denorm_mode_16_64 3
		.amdhsa_fp16_overflow 0
		.amdhsa_memory_ordered 1
		.amdhsa_forward_progress 1
		.amdhsa_inst_pref_size 8
		.amdhsa_round_robin_scheduling 0
		.amdhsa_exception_fp_ieee_invalid_op 0
		.amdhsa_exception_fp_denorm_src 0
		.amdhsa_exception_fp_ieee_div_zero 0
		.amdhsa_exception_fp_ieee_overflow 0
		.amdhsa_exception_fp_ieee_underflow 0
		.amdhsa_exception_fp_ieee_inexact 0
		.amdhsa_exception_int_div_zero 0
	.end_amdhsa_kernel
	.section	.text._ZN9rocsparseL29gebsrmm_small_blockdim_kernelILi1ELi4ELi4ELi16EfEEv20rocsparse_direction_20rocsparse_operation_iiNS_24const_host_device_scalarIT3_EEPKiS7_PKS4_iiS9_lS5_PS4_l21rocsparse_index_base_b,"axG",@progbits,_ZN9rocsparseL29gebsrmm_small_blockdim_kernelILi1ELi4ELi4ELi16EfEEv20rocsparse_direction_20rocsparse_operation_iiNS_24const_host_device_scalarIT3_EEPKiS7_PKS4_iiS9_lS5_PS4_l21rocsparse_index_base_b,comdat
.Lfunc_end2:
	.size	_ZN9rocsparseL29gebsrmm_small_blockdim_kernelILi1ELi4ELi4ELi16EfEEv20rocsparse_direction_20rocsparse_operation_iiNS_24const_host_device_scalarIT3_EEPKiS7_PKS4_iiS9_lS5_PS4_l21rocsparse_index_base_b, .Lfunc_end2-_ZN9rocsparseL29gebsrmm_small_blockdim_kernelILi1ELi4ELi4ELi16EfEEv20rocsparse_direction_20rocsparse_operation_iiNS_24const_host_device_scalarIT3_EEPKiS7_PKS4_iiS9_lS5_PS4_l21rocsparse_index_base_b
                                        ; -- End function
	.set _ZN9rocsparseL29gebsrmm_small_blockdim_kernelILi1ELi4ELi4ELi16EfEEv20rocsparse_direction_20rocsparse_operation_iiNS_24const_host_device_scalarIT3_EEPKiS7_PKS4_iiS9_lS5_PS4_l21rocsparse_index_base_b.num_vgpr, 22
	.set _ZN9rocsparseL29gebsrmm_small_blockdim_kernelILi1ELi4ELi4ELi16EfEEv20rocsparse_direction_20rocsparse_operation_iiNS_24const_host_device_scalarIT3_EEPKiS7_PKS4_iiS9_lS5_PS4_l21rocsparse_index_base_b.num_agpr, 0
	.set _ZN9rocsparseL29gebsrmm_small_blockdim_kernelILi1ELi4ELi4ELi16EfEEv20rocsparse_direction_20rocsparse_operation_iiNS_24const_host_device_scalarIT3_EEPKiS7_PKS4_iiS9_lS5_PS4_l21rocsparse_index_base_b.numbered_sgpr, 28
	.set _ZN9rocsparseL29gebsrmm_small_blockdim_kernelILi1ELi4ELi4ELi16EfEEv20rocsparse_direction_20rocsparse_operation_iiNS_24const_host_device_scalarIT3_EEPKiS7_PKS4_iiS9_lS5_PS4_l21rocsparse_index_base_b.num_named_barrier, 0
	.set _ZN9rocsparseL29gebsrmm_small_blockdim_kernelILi1ELi4ELi4ELi16EfEEv20rocsparse_direction_20rocsparse_operation_iiNS_24const_host_device_scalarIT3_EEPKiS7_PKS4_iiS9_lS5_PS4_l21rocsparse_index_base_b.private_seg_size, 0
	.set _ZN9rocsparseL29gebsrmm_small_blockdim_kernelILi1ELi4ELi4ELi16EfEEv20rocsparse_direction_20rocsparse_operation_iiNS_24const_host_device_scalarIT3_EEPKiS7_PKS4_iiS9_lS5_PS4_l21rocsparse_index_base_b.uses_vcc, 1
	.set _ZN9rocsparseL29gebsrmm_small_blockdim_kernelILi1ELi4ELi4ELi16EfEEv20rocsparse_direction_20rocsparse_operation_iiNS_24const_host_device_scalarIT3_EEPKiS7_PKS4_iiS9_lS5_PS4_l21rocsparse_index_base_b.uses_flat_scratch, 0
	.set _ZN9rocsparseL29gebsrmm_small_blockdim_kernelILi1ELi4ELi4ELi16EfEEv20rocsparse_direction_20rocsparse_operation_iiNS_24const_host_device_scalarIT3_EEPKiS7_PKS4_iiS9_lS5_PS4_l21rocsparse_index_base_b.has_dyn_sized_stack, 0
	.set _ZN9rocsparseL29gebsrmm_small_blockdim_kernelILi1ELi4ELi4ELi16EfEEv20rocsparse_direction_20rocsparse_operation_iiNS_24const_host_device_scalarIT3_EEPKiS7_PKS4_iiS9_lS5_PS4_l21rocsparse_index_base_b.has_recursion, 0
	.set _ZN9rocsparseL29gebsrmm_small_blockdim_kernelILi1ELi4ELi4ELi16EfEEv20rocsparse_direction_20rocsparse_operation_iiNS_24const_host_device_scalarIT3_EEPKiS7_PKS4_iiS9_lS5_PS4_l21rocsparse_index_base_b.has_indirect_call, 0
	.section	.AMDGPU.csdata,"",@progbits
; Kernel info:
; codeLenInByte = 940
; TotalNumSgprs: 30
; NumVgprs: 22
; ScratchSize: 0
; MemoryBound: 0
; FloatMode: 240
; IeeeMode: 1
; LDSByteSize: 320 bytes/workgroup (compile time only)
; SGPRBlocks: 0
; VGPRBlocks: 1
; NumSGPRsForWavesPerEU: 30
; NumVGPRsForWavesPerEU: 22
; NamedBarCnt: 0
; Occupancy: 16
; WaveLimiterHint : 1
; COMPUTE_PGM_RSRC2:SCRATCH_EN: 0
; COMPUTE_PGM_RSRC2:USER_SGPR: 2
; COMPUTE_PGM_RSRC2:TRAP_HANDLER: 0
; COMPUTE_PGM_RSRC2:TGID_X_EN: 1
; COMPUTE_PGM_RSRC2:TGID_Y_EN: 1
; COMPUTE_PGM_RSRC2:TGID_Z_EN: 0
; COMPUTE_PGM_RSRC2:TIDIG_COMP_CNT: 1
	.section	.text._ZN9rocsparseL29gebsrmm_small_blockdim_kernelILi2ELi1ELi2ELi16EfEEv20rocsparse_direction_20rocsparse_operation_iiNS_24const_host_device_scalarIT3_EEPKiS7_PKS4_iiS9_lS5_PS4_l21rocsparse_index_base_b,"axG",@progbits,_ZN9rocsparseL29gebsrmm_small_blockdim_kernelILi2ELi1ELi2ELi16EfEEv20rocsparse_direction_20rocsparse_operation_iiNS_24const_host_device_scalarIT3_EEPKiS7_PKS4_iiS9_lS5_PS4_l21rocsparse_index_base_b,comdat
	.globl	_ZN9rocsparseL29gebsrmm_small_blockdim_kernelILi2ELi1ELi2ELi16EfEEv20rocsparse_direction_20rocsparse_operation_iiNS_24const_host_device_scalarIT3_EEPKiS7_PKS4_iiS9_lS5_PS4_l21rocsparse_index_base_b ; -- Begin function _ZN9rocsparseL29gebsrmm_small_blockdim_kernelILi2ELi1ELi2ELi16EfEEv20rocsparse_direction_20rocsparse_operation_iiNS_24const_host_device_scalarIT3_EEPKiS7_PKS4_iiS9_lS5_PS4_l21rocsparse_index_base_b
	.p2align	8
	.type	_ZN9rocsparseL29gebsrmm_small_blockdim_kernelILi2ELi1ELi2ELi16EfEEv20rocsparse_direction_20rocsparse_operation_iiNS_24const_host_device_scalarIT3_EEPKiS7_PKS4_iiS9_lS5_PS4_l21rocsparse_index_base_b,@function
_ZN9rocsparseL29gebsrmm_small_blockdim_kernelILi2ELi1ELi2ELi16EfEEv20rocsparse_direction_20rocsparse_operation_iiNS_24const_host_device_scalarIT3_EEPKiS7_PKS4_iiS9_lS5_PS4_l21rocsparse_index_base_b: ; @_ZN9rocsparseL29gebsrmm_small_blockdim_kernelILi2ELi1ELi2ELi16EfEEv20rocsparse_direction_20rocsparse_operation_iiNS_24const_host_device_scalarIT3_EEPKiS7_PKS4_iiS9_lS5_PS4_l21rocsparse_index_base_b
; %bb.0:
	s_clause 0x2
	s_load_b64 s[20:21], s[0:1], 0x60
	s_load_b64 s[6:7], s[0:1], 0x10
	s_load_b128 s[8:11], s[0:1], 0x40
	s_wait_kmcnt 0x0
	s_bitcmp1_b32 s21, 0
	s_cselect_b32 s2, -1, 0
	s_delay_alu instid0(SALU_CYCLE_1)
	s_and_b32 vcc_lo, exec_lo, s2
	s_xor_b32 s2, s2, -1
	s_cbranch_vccnz .LBB3_2
; %bb.1:
	s_load_b32 s6, s[6:7], 0x0
.LBB3_2:
	s_and_not1_b32 vcc_lo, exec_lo, s2
	s_cbranch_vccnz .LBB3_4
; %bb.3:
	s_load_b32 s10, s[10:11], 0x0
.LBB3_4:
	s_wait_kmcnt 0x0
	s_cmp_eq_f32 s6, 0
	s_mov_b32 s24, 0
	s_cselect_b32 s2, -1, 0
	s_cmp_eq_f32 s10, 1.0
	s_cselect_b32 s3, -1, 0
	s_delay_alu instid0(SALU_CYCLE_1) | instskip(NEXT) | instid1(SALU_CYCLE_1)
	s_and_b32 s2, s2, s3
	s_and_b32 vcc_lo, exec_lo, s2
	s_cbranch_vccnz .LBB3_21
; %bb.5:
	s_load_b96 s[16:18], s[0:1], 0x4
	s_bfe_u32 s2, ttmp6, 0x4000c
	s_and_b32 s3, ttmp6, 15
	s_add_co_i32 s2, s2, 1
	s_mov_b32 s11, 0
	s_mul_i32 s4, ttmp9, s2
	s_getreg_b32 s2, hwreg(HW_REG_IB_STS2, 6, 4)
	s_add_co_i32 s3, s3, s4
	s_cmp_eq_u32 s2, 0
	s_cselect_b32 s22, ttmp9, s3
	s_wait_kmcnt 0x0
	s_cmp_lt_i32 s22, s17
	s_cselect_b32 s7, -1, 0
	s_cmp_ge_i32 s22, s17
	s_cbranch_scc1 .LBB3_7
; %bb.6:
	s_load_b64 s[4:5], s[0:1], 0x18
	s_ashr_i32 s23, s22, 31
	s_delay_alu instid0(SALU_CYCLE_1)
	s_lshl_b64 s[12:13], s[22:23], 2
	s_wait_kmcnt 0x0
	s_add_nc_u64 s[4:5], s[4:5], s[12:13]
	s_load_b64 s[12:13], s[4:5], 0x0
	s_wait_kmcnt 0x0
	s_sub_co_i32 s24, s12, s20
	s_sub_co_i32 s11, s13, s20
.LBB3_7:
	s_bfe_u32 s3, ttmp6, 0x40010
	s_bfe_u32 s4, ttmp6, 0x40004
	s_add_co_i32 s3, s3, 1
	v_bfe_u32 v2, v0, 10, 10
	s_mul_i32 s3, ttmp7, s3
	v_and_b32_e32 v6, 0x3ff, v0
	s_add_co_i32 s4, s4, s3
	s_cmp_eq_u32 s2, 0
	v_mov_b32_e32 v7, 0
	s_cselect_b32 s2, ttmp7, s4
	s_cmp_ge_i32 s24, s11
	v_lshl_add_u32 v0, s2, 4, v2
	v_cmp_gt_u32_e64 s2, 2, v6
	s_delay_alu instid0(VALU_DEP_2)
	v_ashrrev_i32_e32 v1, 31, v0
	v_cmp_gt_i32_e64 s3, s18, v0
	s_cbranch_scc1 .LBB3_17
; %bb.8:
	v_mul_u64_e32 v[4:5], s[8:9], v[0:1]
	s_clause 0x1
	s_load_b64 s[26:27], s[0:1], 0x38
	s_load_b128 s[12:15], s[0:1], 0x20
	v_dual_lshlrev_b32 v3, 1, v2 :: v_dual_lshlrev_b32 v9, 3, v2
	v_cmp_eq_u32_e32 vcc_lo, 0, v6
	v_cmp_eq_u32_e64 s4, 0, v2
	v_lshl_add_u32 v8, v6, 2, 0x80
	s_delay_alu instid0(VALU_DEP_4)
	v_add_lshl_u32 v10, v3, v6, 2
	v_lshl_add_u32 v11, s24, 1, v6
	s_and_b32 s17, vcc_lo, s3
	s_and_b32 s18, s2, s4
	s_cmp_lg_u32 s16, 0x6f
	v_dual_mov_b32 v7, 0 :: v_dual_add_nc_u32 v12, 0x80, v10
	s_cselect_b32 s16, -1, 0
	s_ashr_i32 s25, s24, 31
	s_delay_alu instid0(SALU_CYCLE_1)
	s_lshl_b64 s[4:5], s[24:25], 2
	s_wait_kmcnt 0x0
	v_lshl_add_u64 v[2:3], v[0:1], 2, s[26:27]
	s_add_nc_u64 s[4:5], s[12:13], s[4:5]
	v_lshl_add_u64 v[4:5], v[4:5], 2, s[26:27]
	s_branch .LBB3_10
.LBB3_9:                                ;   in Loop: Header=BB3_10 Depth=1
	s_or_b32 exec_lo, exec_lo, s12
	s_wait_dscnt 0x0
	; wave barrier
	ds_load_b32 v13, v8
	ds_load_b32 v14, v9
	s_add_co_i32 s24, s24, 1
	s_add_nc_u64 s[4:5], s[4:5], 4
	s_cmp_ge_i32 s24, s11
	s_wait_dscnt 0x0
	; wave barrier
	v_dual_add_nc_u32 v11, 2, v11 :: v_dual_fmac_f32 v7, v13, v14
	s_cbranch_scc1 .LBB3_17
.LBB3_10:                               ; =>This Inner Loop Header: Depth=1
	v_mov_b32_e32 v13, 0
	s_and_saveexec_b32 s19, s17
	s_cbranch_execz .LBB3_15
; %bb.11:                               ;   in Loop: Header=BB3_10 Depth=1
	s_load_b32 s12, s[4:5], 0x0
	s_mov_b32 s21, -1
	s_and_b32 vcc_lo, exec_lo, s16
                                        ; implicit-def: $vgpr13
	s_wait_kmcnt 0x0
	s_sub_co_i32 s12, s12, s20
	s_delay_alu instid0(SALU_CYCLE_1)
	s_ashr_i32 s13, s12, 31
	s_cbranch_vccz .LBB3_13
; %bb.12:                               ;   in Loop: Header=BB3_10 Depth=1
	s_mul_u64 s[26:27], s[8:9], s[12:13]
	s_mov_b32 s21, 0
	v_lshl_add_u64 v[14:15], s[26:27], 2, v[2:3]
	global_load_b32 v13, v[14:15], off
.LBB3_13:                               ;   in Loop: Header=BB3_10 Depth=1
	s_and_not1_b32 vcc_lo, exec_lo, s21
	s_cbranch_vccnz .LBB3_15
; %bb.14:                               ;   in Loop: Header=BB3_10 Depth=1
	s_wait_xcnt 0x0
	v_lshl_add_u64 v[14:15], s[12:13], 2, v[4:5]
	s_wait_loadcnt 0x0
	global_load_b32 v13, v[14:15], off
.LBB3_15:                               ;   in Loop: Header=BB3_10 Depth=1
	s_wait_xcnt 0x0
	s_or_b32 exec_lo, exec_lo, s19
	s_wait_loadcnt 0x0
	ds_store_b32 v10, v13
	s_and_saveexec_b32 s12, s18
	s_cbranch_execz .LBB3_9
; %bb.16:                               ;   in Loop: Header=BB3_10 Depth=1
	global_load_b32 v13, v11, s[14:15] scale_offset
	s_wait_loadcnt 0x0
	ds_store_b32 v12, v13
	s_branch .LBB3_9
.LBB3_17:
	s_load_b64 s[4:5], s[0:1], 0x50
	s_and_b32 s3, s7, s3
	s_delay_alu instid0(SALU_CYCLE_1) | instskip(NEXT) | instid1(SALU_CYCLE_1)
	s_and_b32 s2, s3, s2
	s_and_saveexec_b32 s3, s2
	s_cbranch_execz .LBB3_21
; %bb.18:
	s_wait_xcnt 0x0
	s_load_b64 s[0:1], s[0:1], 0x58
	s_cmp_neq_f32 s10, 0
	v_mul_f32_e32 v4, s6, v7
	s_wait_kmcnt 0x0
	v_mul_u64_e32 v[2:3], s[0:1], v[0:1]
	v_lshl_add_u32 v0, s22, 1, v6
	s_mov_b32 s0, 0
	s_delay_alu instid0(VALU_DEP_1) | instskip(NEXT) | instid1(VALU_DEP_3)
	v_ashrrev_i32_e32 v1, 31, v0
	v_lshl_add_u64 v[2:3], v[2:3], 2, s[4:5]
	s_cbranch_scc0 .LBB3_22
; %bb.19:
	s_delay_alu instid0(VALU_DEP_1)
	v_lshl_add_u64 v[6:7], v[0:1], 2, v[2:3]
	global_load_b32 v5, v[6:7], off
	s_wait_loadcnt 0x0
	v_fma_f32 v5, s10, v5, v4
	global_store_b32 v[6:7], v5, off
	s_and_not1_b32 vcc_lo, exec_lo, s0
	s_cbranch_vccnz .LBB3_21
.LBB3_20:
	s_delay_alu instid0(VALU_DEP_1)
	v_lshl_add_u64 v[0:1], v[0:1], 2, v[2:3]
	global_store_b32 v[0:1], v4, off
.LBB3_21:
	s_endpgm
.LBB3_22:
	s_branch .LBB3_20
	.section	.rodata,"a",@progbits
	.p2align	6, 0x0
	.amdhsa_kernel _ZN9rocsparseL29gebsrmm_small_blockdim_kernelILi2ELi1ELi2ELi16EfEEv20rocsparse_direction_20rocsparse_operation_iiNS_24const_host_device_scalarIT3_EEPKiS7_PKS4_iiS9_lS5_PS4_l21rocsparse_index_base_b
		.amdhsa_group_segment_fixed_size 144
		.amdhsa_private_segment_fixed_size 0
		.amdhsa_kernarg_size 104
		.amdhsa_user_sgpr_count 2
		.amdhsa_user_sgpr_dispatch_ptr 0
		.amdhsa_user_sgpr_queue_ptr 0
		.amdhsa_user_sgpr_kernarg_segment_ptr 1
		.amdhsa_user_sgpr_dispatch_id 0
		.amdhsa_user_sgpr_kernarg_preload_length 0
		.amdhsa_user_sgpr_kernarg_preload_offset 0
		.amdhsa_user_sgpr_private_segment_size 0
		.amdhsa_wavefront_size32 1
		.amdhsa_uses_dynamic_stack 0
		.amdhsa_enable_private_segment 0
		.amdhsa_system_sgpr_workgroup_id_x 1
		.amdhsa_system_sgpr_workgroup_id_y 1
		.amdhsa_system_sgpr_workgroup_id_z 0
		.amdhsa_system_sgpr_workgroup_info 0
		.amdhsa_system_vgpr_workitem_id 1
		.amdhsa_next_free_vgpr 16
		.amdhsa_next_free_sgpr 28
		.amdhsa_named_barrier_count 0
		.amdhsa_reserve_vcc 1
		.amdhsa_float_round_mode_32 0
		.amdhsa_float_round_mode_16_64 0
		.amdhsa_float_denorm_mode_32 3
		.amdhsa_float_denorm_mode_16_64 3
		.amdhsa_fp16_overflow 0
		.amdhsa_memory_ordered 1
		.amdhsa_forward_progress 1
		.amdhsa_inst_pref_size 7
		.amdhsa_round_robin_scheduling 0
		.amdhsa_exception_fp_ieee_invalid_op 0
		.amdhsa_exception_fp_denorm_src 0
		.amdhsa_exception_fp_ieee_div_zero 0
		.amdhsa_exception_fp_ieee_overflow 0
		.amdhsa_exception_fp_ieee_underflow 0
		.amdhsa_exception_fp_ieee_inexact 0
		.amdhsa_exception_int_div_zero 0
	.end_amdhsa_kernel
	.section	.text._ZN9rocsparseL29gebsrmm_small_blockdim_kernelILi2ELi1ELi2ELi16EfEEv20rocsparse_direction_20rocsparse_operation_iiNS_24const_host_device_scalarIT3_EEPKiS7_PKS4_iiS9_lS5_PS4_l21rocsparse_index_base_b,"axG",@progbits,_ZN9rocsparseL29gebsrmm_small_blockdim_kernelILi2ELi1ELi2ELi16EfEEv20rocsparse_direction_20rocsparse_operation_iiNS_24const_host_device_scalarIT3_EEPKiS7_PKS4_iiS9_lS5_PS4_l21rocsparse_index_base_b,comdat
.Lfunc_end3:
	.size	_ZN9rocsparseL29gebsrmm_small_blockdim_kernelILi2ELi1ELi2ELi16EfEEv20rocsparse_direction_20rocsparse_operation_iiNS_24const_host_device_scalarIT3_EEPKiS7_PKS4_iiS9_lS5_PS4_l21rocsparse_index_base_b, .Lfunc_end3-_ZN9rocsparseL29gebsrmm_small_blockdim_kernelILi2ELi1ELi2ELi16EfEEv20rocsparse_direction_20rocsparse_operation_iiNS_24const_host_device_scalarIT3_EEPKiS7_PKS4_iiS9_lS5_PS4_l21rocsparse_index_base_b
                                        ; -- End function
	.set _ZN9rocsparseL29gebsrmm_small_blockdim_kernelILi2ELi1ELi2ELi16EfEEv20rocsparse_direction_20rocsparse_operation_iiNS_24const_host_device_scalarIT3_EEPKiS7_PKS4_iiS9_lS5_PS4_l21rocsparse_index_base_b.num_vgpr, 16
	.set _ZN9rocsparseL29gebsrmm_small_blockdim_kernelILi2ELi1ELi2ELi16EfEEv20rocsparse_direction_20rocsparse_operation_iiNS_24const_host_device_scalarIT3_EEPKiS7_PKS4_iiS9_lS5_PS4_l21rocsparse_index_base_b.num_agpr, 0
	.set _ZN9rocsparseL29gebsrmm_small_blockdim_kernelILi2ELi1ELi2ELi16EfEEv20rocsparse_direction_20rocsparse_operation_iiNS_24const_host_device_scalarIT3_EEPKiS7_PKS4_iiS9_lS5_PS4_l21rocsparse_index_base_b.numbered_sgpr, 28
	.set _ZN9rocsparseL29gebsrmm_small_blockdim_kernelILi2ELi1ELi2ELi16EfEEv20rocsparse_direction_20rocsparse_operation_iiNS_24const_host_device_scalarIT3_EEPKiS7_PKS4_iiS9_lS5_PS4_l21rocsparse_index_base_b.num_named_barrier, 0
	.set _ZN9rocsparseL29gebsrmm_small_blockdim_kernelILi2ELi1ELi2ELi16EfEEv20rocsparse_direction_20rocsparse_operation_iiNS_24const_host_device_scalarIT3_EEPKiS7_PKS4_iiS9_lS5_PS4_l21rocsparse_index_base_b.private_seg_size, 0
	.set _ZN9rocsparseL29gebsrmm_small_blockdim_kernelILi2ELi1ELi2ELi16EfEEv20rocsparse_direction_20rocsparse_operation_iiNS_24const_host_device_scalarIT3_EEPKiS7_PKS4_iiS9_lS5_PS4_l21rocsparse_index_base_b.uses_vcc, 1
	.set _ZN9rocsparseL29gebsrmm_small_blockdim_kernelILi2ELi1ELi2ELi16EfEEv20rocsparse_direction_20rocsparse_operation_iiNS_24const_host_device_scalarIT3_EEPKiS7_PKS4_iiS9_lS5_PS4_l21rocsparse_index_base_b.uses_flat_scratch, 0
	.set _ZN9rocsparseL29gebsrmm_small_blockdim_kernelILi2ELi1ELi2ELi16EfEEv20rocsparse_direction_20rocsparse_operation_iiNS_24const_host_device_scalarIT3_EEPKiS7_PKS4_iiS9_lS5_PS4_l21rocsparse_index_base_b.has_dyn_sized_stack, 0
	.set _ZN9rocsparseL29gebsrmm_small_blockdim_kernelILi2ELi1ELi2ELi16EfEEv20rocsparse_direction_20rocsparse_operation_iiNS_24const_host_device_scalarIT3_EEPKiS7_PKS4_iiS9_lS5_PS4_l21rocsparse_index_base_b.has_recursion, 0
	.set _ZN9rocsparseL29gebsrmm_small_blockdim_kernelILi2ELi1ELi2ELi16EfEEv20rocsparse_direction_20rocsparse_operation_iiNS_24const_host_device_scalarIT3_EEPKiS7_PKS4_iiS9_lS5_PS4_l21rocsparse_index_base_b.has_indirect_call, 0
	.section	.AMDGPU.csdata,"",@progbits
; Kernel info:
; codeLenInByte = 884
; TotalNumSgprs: 30
; NumVgprs: 16
; ScratchSize: 0
; MemoryBound: 0
; FloatMode: 240
; IeeeMode: 1
; LDSByteSize: 144 bytes/workgroup (compile time only)
; SGPRBlocks: 0
; VGPRBlocks: 0
; NumSGPRsForWavesPerEU: 30
; NumVGPRsForWavesPerEU: 16
; NamedBarCnt: 0
; Occupancy: 16
; WaveLimiterHint : 1
; COMPUTE_PGM_RSRC2:SCRATCH_EN: 0
; COMPUTE_PGM_RSRC2:USER_SGPR: 2
; COMPUTE_PGM_RSRC2:TRAP_HANDLER: 0
; COMPUTE_PGM_RSRC2:TGID_X_EN: 1
; COMPUTE_PGM_RSRC2:TGID_Y_EN: 1
; COMPUTE_PGM_RSRC2:TGID_Z_EN: 0
; COMPUTE_PGM_RSRC2:TIDIG_COMP_CNT: 1
	.section	.text._ZN9rocsparseL29gebsrmm_small_blockdim_kernelILi2ELi3ELi3ELi16EfEEv20rocsparse_direction_20rocsparse_operation_iiNS_24const_host_device_scalarIT3_EEPKiS7_PKS4_iiS9_lS5_PS4_l21rocsparse_index_base_b,"axG",@progbits,_ZN9rocsparseL29gebsrmm_small_blockdim_kernelILi2ELi3ELi3ELi16EfEEv20rocsparse_direction_20rocsparse_operation_iiNS_24const_host_device_scalarIT3_EEPKiS7_PKS4_iiS9_lS5_PS4_l21rocsparse_index_base_b,comdat
	.globl	_ZN9rocsparseL29gebsrmm_small_blockdim_kernelILi2ELi3ELi3ELi16EfEEv20rocsparse_direction_20rocsparse_operation_iiNS_24const_host_device_scalarIT3_EEPKiS7_PKS4_iiS9_lS5_PS4_l21rocsparse_index_base_b ; -- Begin function _ZN9rocsparseL29gebsrmm_small_blockdim_kernelILi2ELi3ELi3ELi16EfEEv20rocsparse_direction_20rocsparse_operation_iiNS_24const_host_device_scalarIT3_EEPKiS7_PKS4_iiS9_lS5_PS4_l21rocsparse_index_base_b
	.p2align	8
	.type	_ZN9rocsparseL29gebsrmm_small_blockdim_kernelILi2ELi3ELi3ELi16EfEEv20rocsparse_direction_20rocsparse_operation_iiNS_24const_host_device_scalarIT3_EEPKiS7_PKS4_iiS9_lS5_PS4_l21rocsparse_index_base_b,@function
_ZN9rocsparseL29gebsrmm_small_blockdim_kernelILi2ELi3ELi3ELi16EfEEv20rocsparse_direction_20rocsparse_operation_iiNS_24const_host_device_scalarIT3_EEPKiS7_PKS4_iiS9_lS5_PS4_l21rocsparse_index_base_b: ; @_ZN9rocsparseL29gebsrmm_small_blockdim_kernelILi2ELi3ELi3ELi16EfEEv20rocsparse_direction_20rocsparse_operation_iiNS_24const_host_device_scalarIT3_EEPKiS7_PKS4_iiS9_lS5_PS4_l21rocsparse_index_base_b
; %bb.0:
	s_clause 0x2
	s_load_b64 s[20:21], s[0:1], 0x60
	s_load_b64 s[6:7], s[0:1], 0x10
	s_load_b128 s[8:11], s[0:1], 0x40
	s_wait_kmcnt 0x0
	s_bitcmp1_b32 s21, 0
	s_cselect_b32 s2, -1, 0
	s_delay_alu instid0(SALU_CYCLE_1)
	s_and_b32 vcc_lo, exec_lo, s2
	s_xor_b32 s2, s2, -1
	s_cbranch_vccnz .LBB4_2
; %bb.1:
	s_load_b32 s6, s[6:7], 0x0
.LBB4_2:
	s_and_not1_b32 vcc_lo, exec_lo, s2
	s_cbranch_vccnz .LBB4_4
; %bb.3:
	s_load_b32 s10, s[10:11], 0x0
.LBB4_4:
	s_wait_kmcnt 0x0
	s_cmp_eq_f32 s6, 0
	s_mov_b32 s24, 0
	s_cselect_b32 s2, -1, 0
	s_cmp_eq_f32 s10, 1.0
	s_cselect_b32 s3, -1, 0
	s_delay_alu instid0(SALU_CYCLE_1) | instskip(NEXT) | instid1(SALU_CYCLE_1)
	s_and_b32 s2, s2, s3
	s_and_b32 vcc_lo, exec_lo, s2
	s_cbranch_vccnz .LBB4_21
; %bb.5:
	s_load_b128 s[16:19], s[0:1], 0x0
	s_bfe_u32 s2, ttmp6, 0x4000c
	s_and_b32 s3, ttmp6, 15
	s_add_co_i32 s2, s2, 1
	s_mov_b32 s11, 0
	s_mul_i32 s4, ttmp9, s2
	s_getreg_b32 s2, hwreg(HW_REG_IB_STS2, 6, 4)
	s_add_co_i32 s3, s3, s4
	s_cmp_eq_u32 s2, 0
	s_cselect_b32 s22, ttmp9, s3
	s_wait_kmcnt 0x0
	s_cmp_lt_i32 s22, s18
	s_cselect_b32 s7, -1, 0
	s_cmp_ge_i32 s22, s18
	s_cbranch_scc1 .LBB4_7
; %bb.6:
	s_load_b64 s[4:5], s[0:1], 0x18
	s_ashr_i32 s23, s22, 31
	s_delay_alu instid0(SALU_CYCLE_1)
	s_lshl_b64 s[12:13], s[22:23], 2
	s_wait_kmcnt 0x0
	s_add_nc_u64 s[4:5], s[4:5], s[12:13]
	s_load_b64 s[12:13], s[4:5], 0x0
	s_wait_kmcnt 0x0
	s_sub_co_i32 s24, s12, s20
	s_sub_co_i32 s11, s13, s20
.LBB4_7:
	s_bfe_u32 s3, ttmp6, 0x40010
	s_bfe_u32 s4, ttmp6, 0x40004
	s_add_co_i32 s3, s3, 1
	v_bfe_u32 v4, v0, 10, 10
	s_mul_i32 s3, ttmp7, s3
	v_and_b32_e32 v8, 0x3ff, v0
	s_add_co_i32 s4, s4, s3
	s_cmp_eq_u32 s2, 0
	v_mov_b32_e32 v3, 0
	s_cselect_b32 s2, ttmp7, s4
	s_cmp_ge_i32 s24, s11
	v_lshl_add_u32 v0, s2, 4, v4
	v_cmp_gt_u32_e64 s2, 2, v8
	s_delay_alu instid0(VALU_DEP_2)
	v_ashrrev_i32_e32 v1, 31, v0
	v_cmp_gt_i32_e64 s3, s19, v0
	s_cbranch_scc1 .LBB4_17
; %bb.8:
	v_mul_u64_e32 v[6:7], s[8:9], v[0:1]
	s_clause 0x1
	s_load_b64 s[26:27], s[0:1], 0x38
	s_load_b128 s[12:15], s[0:1], 0x20
	v_cmp_gt_u32_e32 vcc_lo, 3, v8
	v_cmp_gt_u32_e64 s4, 3, v4
	v_mad_u32_u24 v3, v4, 3, v8
	v_mad_u32_u24 v5, v8, 3, v4
	v_mul_u32_u24_e32 v12, 3, v4
	s_and_b32 s18, s3, vcc_lo
	s_and_b32 s19, s2, s4
	s_cmp_lg_u32 s17, 0x6f
	v_sub_nc_u32_e32 v9, v3, v4
	s_cselect_b32 s17, -1, 0
	s_cmp_eq_u32 s16, 0
	v_lshlrev_b32_e32 v12, 2, v12
	s_cselect_b32 vcc_lo, -1, 0
	v_dual_cndmask_b32 v5, v9, v5 :: v_dual_lshlrev_b32 v2, 2, v8
	v_dual_lshlrev_b32 v9, 2, v3 :: v_dual_mov_b32 v3, 0
	s_ashr_i32 s25, s24, 31
	s_delay_alu instid0(VALU_DEP_2) | instskip(NEXT) | instid1(VALU_DEP_2)
	v_mad_u32 v10, s24, 6, v5
	v_add_nc_u32_e32 v11, 0xc0, v9
	s_wait_kmcnt 0x0
	v_lshl_add_u64 v[4:5], v[0:1], 2, s[26:27]
	s_lshl_b64 s[4:5], s[24:25], 2
	s_delay_alu instid0(SALU_CYCLE_1) | instskip(SKIP_1) | instid1(VALU_DEP_1)
	s_add_nc_u64 s[4:5], s[12:13], s[4:5]
	v_lshl_add_u64 v[6:7], v[6:7], 2, s[26:27]
	v_add_nc_u64_e32 v[6:7], v[6:7], v[2:3]
	v_add_nc_u32_e32 v2, 0xc0, v2
	s_branch .LBB4_10
.LBB4_9:                                ;   in Loop: Header=BB4_10 Depth=1
	s_or_b32 exec_lo, exec_lo, s12
	s_wait_dscnt 0x0
	s_barrier_signal -1
	s_barrier_wait -1
	ds_load_2addr_b32 v[14:15], v2 offset1:3
	ds_load_2addr_b32 v[16:17], v12 offset1:1
	ds_load_b32 v13, v12 offset:8
	ds_load_b32 v18, v2 offset:24
	s_add_co_i32 s24, s24, 1
	s_add_nc_u64 s[4:5], s[4:5], 4
	s_cmp_ge_i32 s24, s11
	s_wait_dscnt 0x0
	s_barrier_signal -1
	s_barrier_wait -1
	v_dual_fmac_f32 v3, v14, v16 :: v_dual_add_nc_u32 v10, 6, v10
	s_delay_alu instid0(VALU_DEP_1) | instskip(NEXT) | instid1(VALU_DEP_1)
	v_fmac_f32_e32 v3, v15, v17
	v_fmac_f32_e32 v3, v18, v13
	s_cbranch_scc1 .LBB4_17
.LBB4_10:                               ; =>This Inner Loop Header: Depth=1
	v_mov_b32_e32 v13, 0
	s_and_saveexec_b32 s16, s18
	s_cbranch_execz .LBB4_15
; %bb.11:                               ;   in Loop: Header=BB4_10 Depth=1
	s_load_b32 s12, s[4:5], 0x0
	s_mov_b32 s13, -1
	s_and_b32 vcc_lo, exec_lo, s17
                                        ; implicit-def: $vgpr13
	s_wait_kmcnt 0x0
	s_sub_co_i32 s12, s12, s20
	s_delay_alu instid0(SALU_CYCLE_1)
	s_mul_i32 s12, s12, 3
	s_cbranch_vccz .LBB4_13
; %bb.12:                               ;   in Loop: Header=BB4_10 Depth=1
	v_add_nc_u32_e32 v14, s12, v8
	s_mov_b32 s13, 0
	s_delay_alu instid0(VALU_DEP_1) | instskip(NEXT) | instid1(VALU_DEP_1)
	v_ashrrev_i32_e32 v15, 31, v14
	v_mul_u64_e32 v[14:15], s[8:9], v[14:15]
	s_delay_alu instid0(VALU_DEP_1)
	v_lshl_add_u64 v[14:15], v[14:15], 2, v[4:5]
	global_load_b32 v13, v[14:15], off
.LBB4_13:                               ;   in Loop: Header=BB4_10 Depth=1
	s_and_not1_b32 vcc_lo, exec_lo, s13
	s_cbranch_vccnz .LBB4_15
; %bb.14:                               ;   in Loop: Header=BB4_10 Depth=1
	s_ashr_i32 s13, s12, 31
	s_wait_xcnt 0x0
	v_lshl_add_u64 v[14:15], s[12:13], 2, v[6:7]
	s_wait_loadcnt 0x0
	global_load_b32 v13, v[14:15], off
.LBB4_15:                               ;   in Loop: Header=BB4_10 Depth=1
	s_wait_xcnt 0x0
	s_or_b32 exec_lo, exec_lo, s16
	s_wait_loadcnt 0x0
	ds_store_b32 v9, v13
	s_and_saveexec_b32 s12, s19
	s_cbranch_execz .LBB4_9
; %bb.16:                               ;   in Loop: Header=BB4_10 Depth=1
	global_load_b32 v13, v10, s[14:15] scale_offset
	s_wait_loadcnt 0x0
	ds_store_b32 v11, v13
	s_branch .LBB4_9
.LBB4_17:
	s_load_b64 s[4:5], s[0:1], 0x50
	s_and_b32 s3, s7, s3
	s_delay_alu instid0(SALU_CYCLE_1) | instskip(NEXT) | instid1(SALU_CYCLE_1)
	s_and_b32 s2, s3, s2
	s_and_saveexec_b32 s3, s2
	s_cbranch_execz .LBB4_21
; %bb.18:
	s_wait_xcnt 0x0
	s_load_b64 s[0:1], s[0:1], 0x58
	s_cmp_neq_f32 s10, 0
	v_mul_f32_e32 v4, s6, v3
	s_wait_kmcnt 0x0
	v_mul_u64_e32 v[6:7], s[0:1], v[0:1]
	v_lshl_add_u32 v0, s22, 1, v8
	s_mov_b32 s0, 0
	s_delay_alu instid0(VALU_DEP_1) | instskip(NEXT) | instid1(VALU_DEP_3)
	v_ashrrev_i32_e32 v1, 31, v0
	v_lshl_add_u64 v[2:3], v[6:7], 2, s[4:5]
	s_cbranch_scc0 .LBB4_22
; %bb.19:
	s_delay_alu instid0(VALU_DEP_1)
	v_lshl_add_u64 v[6:7], v[0:1], 2, v[2:3]
	global_load_b32 v5, v[6:7], off
	s_wait_loadcnt 0x0
	v_fma_f32 v5, s10, v5, v4
	global_store_b32 v[6:7], v5, off
	s_and_not1_b32 vcc_lo, exec_lo, s0
	s_cbranch_vccnz .LBB4_21
.LBB4_20:
	s_delay_alu instid0(VALU_DEP_1)
	v_lshl_add_u64 v[0:1], v[0:1], 2, v[2:3]
	global_store_b32 v[0:1], v4, off
.LBB4_21:
	s_endpgm
.LBB4_22:
	s_branch .LBB4_20
	.section	.rodata,"a",@progbits
	.p2align	6, 0x0
	.amdhsa_kernel _ZN9rocsparseL29gebsrmm_small_blockdim_kernelILi2ELi3ELi3ELi16EfEEv20rocsparse_direction_20rocsparse_operation_iiNS_24const_host_device_scalarIT3_EEPKiS7_PKS4_iiS9_lS5_PS4_l21rocsparse_index_base_b
		.amdhsa_group_segment_fixed_size 228
		.amdhsa_private_segment_fixed_size 0
		.amdhsa_kernarg_size 104
		.amdhsa_user_sgpr_count 2
		.amdhsa_user_sgpr_dispatch_ptr 0
		.amdhsa_user_sgpr_queue_ptr 0
		.amdhsa_user_sgpr_kernarg_segment_ptr 1
		.amdhsa_user_sgpr_dispatch_id 0
		.amdhsa_user_sgpr_kernarg_preload_length 0
		.amdhsa_user_sgpr_kernarg_preload_offset 0
		.amdhsa_user_sgpr_private_segment_size 0
		.amdhsa_wavefront_size32 1
		.amdhsa_uses_dynamic_stack 0
		.amdhsa_enable_private_segment 0
		.amdhsa_system_sgpr_workgroup_id_x 1
		.amdhsa_system_sgpr_workgroup_id_y 1
		.amdhsa_system_sgpr_workgroup_id_z 0
		.amdhsa_system_sgpr_workgroup_info 0
		.amdhsa_system_vgpr_workitem_id 1
		.amdhsa_next_free_vgpr 19
		.amdhsa_next_free_sgpr 28
		.amdhsa_named_barrier_count 0
		.amdhsa_reserve_vcc 1
		.amdhsa_float_round_mode_32 0
		.amdhsa_float_round_mode_16_64 0
		.amdhsa_float_denorm_mode_32 3
		.amdhsa_float_denorm_mode_16_64 3
		.amdhsa_fp16_overflow 0
		.amdhsa_memory_ordered 1
		.amdhsa_forward_progress 1
		.amdhsa_inst_pref_size 8
		.amdhsa_round_robin_scheduling 0
		.amdhsa_exception_fp_ieee_invalid_op 0
		.amdhsa_exception_fp_denorm_src 0
		.amdhsa_exception_fp_ieee_div_zero 0
		.amdhsa_exception_fp_ieee_overflow 0
		.amdhsa_exception_fp_ieee_underflow 0
		.amdhsa_exception_fp_ieee_inexact 0
		.amdhsa_exception_int_div_zero 0
	.end_amdhsa_kernel
	.section	.text._ZN9rocsparseL29gebsrmm_small_blockdim_kernelILi2ELi3ELi3ELi16EfEEv20rocsparse_direction_20rocsparse_operation_iiNS_24const_host_device_scalarIT3_EEPKiS7_PKS4_iiS9_lS5_PS4_l21rocsparse_index_base_b,"axG",@progbits,_ZN9rocsparseL29gebsrmm_small_blockdim_kernelILi2ELi3ELi3ELi16EfEEv20rocsparse_direction_20rocsparse_operation_iiNS_24const_host_device_scalarIT3_EEPKiS7_PKS4_iiS9_lS5_PS4_l21rocsparse_index_base_b,comdat
.Lfunc_end4:
	.size	_ZN9rocsparseL29gebsrmm_small_blockdim_kernelILi2ELi3ELi3ELi16EfEEv20rocsparse_direction_20rocsparse_operation_iiNS_24const_host_device_scalarIT3_EEPKiS7_PKS4_iiS9_lS5_PS4_l21rocsparse_index_base_b, .Lfunc_end4-_ZN9rocsparseL29gebsrmm_small_blockdim_kernelILi2ELi3ELi3ELi16EfEEv20rocsparse_direction_20rocsparse_operation_iiNS_24const_host_device_scalarIT3_EEPKiS7_PKS4_iiS9_lS5_PS4_l21rocsparse_index_base_b
                                        ; -- End function
	.set _ZN9rocsparseL29gebsrmm_small_blockdim_kernelILi2ELi3ELi3ELi16EfEEv20rocsparse_direction_20rocsparse_operation_iiNS_24const_host_device_scalarIT3_EEPKiS7_PKS4_iiS9_lS5_PS4_l21rocsparse_index_base_b.num_vgpr, 19
	.set _ZN9rocsparseL29gebsrmm_small_blockdim_kernelILi2ELi3ELi3ELi16EfEEv20rocsparse_direction_20rocsparse_operation_iiNS_24const_host_device_scalarIT3_EEPKiS7_PKS4_iiS9_lS5_PS4_l21rocsparse_index_base_b.num_agpr, 0
	.set _ZN9rocsparseL29gebsrmm_small_blockdim_kernelILi2ELi3ELi3ELi16EfEEv20rocsparse_direction_20rocsparse_operation_iiNS_24const_host_device_scalarIT3_EEPKiS7_PKS4_iiS9_lS5_PS4_l21rocsparse_index_base_b.numbered_sgpr, 28
	.set _ZN9rocsparseL29gebsrmm_small_blockdim_kernelILi2ELi3ELi3ELi16EfEEv20rocsparse_direction_20rocsparse_operation_iiNS_24const_host_device_scalarIT3_EEPKiS7_PKS4_iiS9_lS5_PS4_l21rocsparse_index_base_b.num_named_barrier, 0
	.set _ZN9rocsparseL29gebsrmm_small_blockdim_kernelILi2ELi3ELi3ELi16EfEEv20rocsparse_direction_20rocsparse_operation_iiNS_24const_host_device_scalarIT3_EEPKiS7_PKS4_iiS9_lS5_PS4_l21rocsparse_index_base_b.private_seg_size, 0
	.set _ZN9rocsparseL29gebsrmm_small_blockdim_kernelILi2ELi3ELi3ELi16EfEEv20rocsparse_direction_20rocsparse_operation_iiNS_24const_host_device_scalarIT3_EEPKiS7_PKS4_iiS9_lS5_PS4_l21rocsparse_index_base_b.uses_vcc, 1
	.set _ZN9rocsparseL29gebsrmm_small_blockdim_kernelILi2ELi3ELi3ELi16EfEEv20rocsparse_direction_20rocsparse_operation_iiNS_24const_host_device_scalarIT3_EEPKiS7_PKS4_iiS9_lS5_PS4_l21rocsparse_index_base_b.uses_flat_scratch, 0
	.set _ZN9rocsparseL29gebsrmm_small_blockdim_kernelILi2ELi3ELi3ELi16EfEEv20rocsparse_direction_20rocsparse_operation_iiNS_24const_host_device_scalarIT3_EEPKiS7_PKS4_iiS9_lS5_PS4_l21rocsparse_index_base_b.has_dyn_sized_stack, 0
	.set _ZN9rocsparseL29gebsrmm_small_blockdim_kernelILi2ELi3ELi3ELi16EfEEv20rocsparse_direction_20rocsparse_operation_iiNS_24const_host_device_scalarIT3_EEPKiS7_PKS4_iiS9_lS5_PS4_l21rocsparse_index_base_b.has_recursion, 0
	.set _ZN9rocsparseL29gebsrmm_small_blockdim_kernelILi2ELi3ELi3ELi16EfEEv20rocsparse_direction_20rocsparse_operation_iiNS_24const_host_device_scalarIT3_EEPKiS7_PKS4_iiS9_lS5_PS4_l21rocsparse_index_base_b.has_indirect_call, 0
	.section	.AMDGPU.csdata,"",@progbits
; Kernel info:
; codeLenInByte = 976
; TotalNumSgprs: 30
; NumVgprs: 19
; ScratchSize: 0
; MemoryBound: 0
; FloatMode: 240
; IeeeMode: 1
; LDSByteSize: 228 bytes/workgroup (compile time only)
; SGPRBlocks: 0
; VGPRBlocks: 1
; NumSGPRsForWavesPerEU: 30
; NumVGPRsForWavesPerEU: 19
; NamedBarCnt: 0
; Occupancy: 16
; WaveLimiterHint : 1
; COMPUTE_PGM_RSRC2:SCRATCH_EN: 0
; COMPUTE_PGM_RSRC2:USER_SGPR: 2
; COMPUTE_PGM_RSRC2:TRAP_HANDLER: 0
; COMPUTE_PGM_RSRC2:TGID_X_EN: 1
; COMPUTE_PGM_RSRC2:TGID_Y_EN: 1
; COMPUTE_PGM_RSRC2:TGID_Z_EN: 0
; COMPUTE_PGM_RSRC2:TIDIG_COMP_CNT: 1
	.section	.text._ZN9rocsparseL29gebsrmm_small_blockdim_kernelILi2ELi4ELi4ELi16EfEEv20rocsparse_direction_20rocsparse_operation_iiNS_24const_host_device_scalarIT3_EEPKiS7_PKS4_iiS9_lS5_PS4_l21rocsparse_index_base_b,"axG",@progbits,_ZN9rocsparseL29gebsrmm_small_blockdim_kernelILi2ELi4ELi4ELi16EfEEv20rocsparse_direction_20rocsparse_operation_iiNS_24const_host_device_scalarIT3_EEPKiS7_PKS4_iiS9_lS5_PS4_l21rocsparse_index_base_b,comdat
	.globl	_ZN9rocsparseL29gebsrmm_small_blockdim_kernelILi2ELi4ELi4ELi16EfEEv20rocsparse_direction_20rocsparse_operation_iiNS_24const_host_device_scalarIT3_EEPKiS7_PKS4_iiS9_lS5_PS4_l21rocsparse_index_base_b ; -- Begin function _ZN9rocsparseL29gebsrmm_small_blockdim_kernelILi2ELi4ELi4ELi16EfEEv20rocsparse_direction_20rocsparse_operation_iiNS_24const_host_device_scalarIT3_EEPKiS7_PKS4_iiS9_lS5_PS4_l21rocsparse_index_base_b
	.p2align	8
	.type	_ZN9rocsparseL29gebsrmm_small_blockdim_kernelILi2ELi4ELi4ELi16EfEEv20rocsparse_direction_20rocsparse_operation_iiNS_24const_host_device_scalarIT3_EEPKiS7_PKS4_iiS9_lS5_PS4_l21rocsparse_index_base_b,@function
_ZN9rocsparseL29gebsrmm_small_blockdim_kernelILi2ELi4ELi4ELi16EfEEv20rocsparse_direction_20rocsparse_operation_iiNS_24const_host_device_scalarIT3_EEPKiS7_PKS4_iiS9_lS5_PS4_l21rocsparse_index_base_b: ; @_ZN9rocsparseL29gebsrmm_small_blockdim_kernelILi2ELi4ELi4ELi16EfEEv20rocsparse_direction_20rocsparse_operation_iiNS_24const_host_device_scalarIT3_EEPKiS7_PKS4_iiS9_lS5_PS4_l21rocsparse_index_base_b
; %bb.0:
	s_clause 0x2
	s_load_b64 s[20:21], s[0:1], 0x60
	s_load_b64 s[6:7], s[0:1], 0x10
	s_load_b128 s[8:11], s[0:1], 0x40
	s_wait_kmcnt 0x0
	s_bitcmp1_b32 s21, 0
	s_cselect_b32 s2, -1, 0
	s_delay_alu instid0(SALU_CYCLE_1)
	s_and_b32 vcc_lo, exec_lo, s2
	s_xor_b32 s2, s2, -1
	s_cbranch_vccnz .LBB5_2
; %bb.1:
	s_load_b32 s6, s[6:7], 0x0
.LBB5_2:
	s_and_not1_b32 vcc_lo, exec_lo, s2
	s_cbranch_vccnz .LBB5_4
; %bb.3:
	s_load_b32 s10, s[10:11], 0x0
.LBB5_4:
	s_wait_kmcnt 0x0
	s_cmp_eq_f32 s6, 0
	s_mov_b32 s24, 0
	s_cselect_b32 s2, -1, 0
	s_cmp_eq_f32 s10, 1.0
	s_cselect_b32 s3, -1, 0
	s_delay_alu instid0(SALU_CYCLE_1) | instskip(NEXT) | instid1(SALU_CYCLE_1)
	s_and_b32 s2, s2, s3
	s_and_b32 vcc_lo, exec_lo, s2
	s_cbranch_vccnz .LBB5_21
; %bb.5:
	s_load_b128 s[16:19], s[0:1], 0x0
	s_bfe_u32 s2, ttmp6, 0x4000c
	s_and_b32 s3, ttmp6, 15
	s_add_co_i32 s2, s2, 1
	s_mov_b32 s11, 0
	s_mul_i32 s4, ttmp9, s2
	s_getreg_b32 s2, hwreg(HW_REG_IB_STS2, 6, 4)
	s_add_co_i32 s3, s3, s4
	s_cmp_eq_u32 s2, 0
	s_cselect_b32 s22, ttmp9, s3
	s_wait_kmcnt 0x0
	s_cmp_lt_i32 s22, s18
	s_cselect_b32 s7, -1, 0
	s_cmp_ge_i32 s22, s18
	s_cbranch_scc1 .LBB5_7
; %bb.6:
	s_load_b64 s[4:5], s[0:1], 0x18
	s_ashr_i32 s23, s22, 31
	s_delay_alu instid0(SALU_CYCLE_1)
	s_lshl_b64 s[12:13], s[22:23], 2
	s_wait_kmcnt 0x0
	s_add_nc_u64 s[4:5], s[4:5], s[12:13]
	s_load_b64 s[12:13], s[4:5], 0x0
	s_wait_kmcnt 0x0
	s_sub_co_i32 s24, s12, s20
	s_sub_co_i32 s11, s13, s20
.LBB5_7:
	s_bfe_u32 s3, ttmp6, 0x40010
	s_bfe_u32 s4, ttmp6, 0x40004
	s_add_co_i32 s3, s3, 1
	v_bfe_u32 v12, v0, 10, 10
	s_mul_i32 s3, ttmp7, s3
	v_and_b32_e32 v8, 0x3ff, v0
	s_add_co_i32 s4, s4, s3
	s_cmp_eq_u32 s2, 0
	v_mov_b32_e32 v3, 0
	s_cselect_b32 s2, ttmp7, s4
	s_cmp_ge_i32 s24, s11
	v_lshl_add_u32 v0, s2, 4, v12
	v_cmp_gt_u32_e64 s2, 2, v8
	s_delay_alu instid0(VALU_DEP_2)
	v_ashrrev_i32_e32 v1, 31, v0
	v_cmp_gt_i32_e64 s3, s19, v0
	s_cbranch_scc1 .LBB5_17
; %bb.8:
	v_mul_u64_e32 v[4:5], s[8:9], v[0:1]
	s_clause 0x1
	s_load_b64 s[26:27], s[0:1], 0x38
	s_load_b128 s[12:15], s[0:1], 0x20
	v_cmp_gt_u32_e32 vcc_lo, 4, v8
	v_cmp_gt_u32_e64 s4, 4, v12
	v_lshl_add_u32 v6, v12, 2, v8
	v_dual_mov_b32 v3, 0 :: v_dual_lshlrev_b32 v2, 2, v8
	v_lshlrev_b32_e32 v7, 1, v12
	s_and_b32 s18, s3, vcc_lo
	s_and_b32 s19, s2, s4
	s_cmp_lg_u32 s17, 0x6f
	s_delay_alu instid0(VALU_DEP_1)
	v_dual_lshlrev_b32 v9, 2, v6 :: v_dual_sub_nc_u32 v13, v6, v7
	v_add_nc_u32_e32 v14, v2, v12
	s_cselect_b32 s17, -1, 0
	s_cmp_eq_u32 s16, 0
	v_add_nc_u32_e32 v10, 0x100, v2
	s_cselect_b32 vcc_lo, -1, 0
	s_ashr_i32 s25, s24, 31
	v_add_nc_u32_e32 v11, 0x100, v9
	s_lshl_b64 s[4:5], s[24:25], 2
	s_wait_kmcnt 0x0
	s_add_nc_u64 s[4:5], s[12:13], s[4:5]
	v_lshl_add_u64 v[6:7], v[4:5], 2, s[26:27]
	v_lshl_add_u64 v[4:5], v[0:1], 2, s[26:27]
	s_delay_alu instid0(VALU_DEP_2) | instskip(SKIP_1) | instid1(VALU_DEP_1)
	v_add_nc_u64_e32 v[6:7], v[6:7], v[2:3]
	v_dual_cndmask_b32 v13, v13, v14 :: v_dual_lshlrev_b32 v2, 4, v12
	v_lshl_add_u32 v12, s24, 3, v13
	s_branch .LBB5_10
.LBB5_9:                                ;   in Loop: Header=BB5_10 Depth=1
	s_or_b32 exec_lo, exec_lo, s12
	s_wait_dscnt 0x0
	s_barrier_signal -1
	s_barrier_wait -1
	ds_load_b128 v[14:17], v2
	ds_load_2addr_b32 v[18:19], v10 offset1:4
	ds_load_2addr_b32 v[20:21], v10 offset0:8 offset1:12
	s_add_co_i32 s24, s24, 1
	s_add_nc_u64 s[4:5], s[4:5], 4
	s_cmp_ge_i32 s24, s11
	s_wait_dscnt 0x0
	s_barrier_signal -1
	s_barrier_wait -1
	v_dual_fmac_f32 v3, v18, v14 :: v_dual_add_nc_u32 v12, 8, v12
	s_delay_alu instid0(VALU_DEP_1) | instskip(NEXT) | instid1(VALU_DEP_1)
	v_fmac_f32_e32 v3, v19, v15
	v_fmac_f32_e32 v3, v20, v16
	s_delay_alu instid0(VALU_DEP_1)
	v_fmac_f32_e32 v3, v21, v17
	s_cbranch_scc1 .LBB5_17
.LBB5_10:                               ; =>This Inner Loop Header: Depth=1
	v_mov_b32_e32 v13, 0
	s_and_saveexec_b32 s16, s18
	s_cbranch_execz .LBB5_15
; %bb.11:                               ;   in Loop: Header=BB5_10 Depth=1
	s_load_b32 s12, s[4:5], 0x0
	s_mov_b32 s13, -1
	s_and_b32 vcc_lo, exec_lo, s17
                                        ; implicit-def: $vgpr13
	s_wait_kmcnt 0x0
	s_sub_co_i32 s12, s12, s20
	s_delay_alu instid0(SALU_CYCLE_1)
	s_lshl_b32 s12, s12, 2
	s_cbranch_vccz .LBB5_13
; %bb.12:                               ;   in Loop: Header=BB5_10 Depth=1
	v_or_b32_e32 v14, s12, v8
	s_mov_b32 s13, 0
	s_delay_alu instid0(VALU_DEP_1) | instskip(NEXT) | instid1(VALU_DEP_1)
	v_ashrrev_i32_e32 v15, 31, v14
	v_mul_u64_e32 v[14:15], s[8:9], v[14:15]
	s_delay_alu instid0(VALU_DEP_1)
	v_lshl_add_u64 v[14:15], v[14:15], 2, v[4:5]
	global_load_b32 v13, v[14:15], off
.LBB5_13:                               ;   in Loop: Header=BB5_10 Depth=1
	s_and_not1_b32 vcc_lo, exec_lo, s13
	s_cbranch_vccnz .LBB5_15
; %bb.14:                               ;   in Loop: Header=BB5_10 Depth=1
	s_ashr_i32 s13, s12, 31
	s_wait_xcnt 0x0
	v_lshl_add_u64 v[14:15], s[12:13], 2, v[6:7]
	s_wait_loadcnt 0x0
	global_load_b32 v13, v[14:15], off
.LBB5_15:                               ;   in Loop: Header=BB5_10 Depth=1
	s_wait_xcnt 0x0
	s_or_b32 exec_lo, exec_lo, s16
	s_wait_loadcnt 0x0
	ds_store_b32 v9, v13
	s_and_saveexec_b32 s12, s19
	s_cbranch_execz .LBB5_9
; %bb.16:                               ;   in Loop: Header=BB5_10 Depth=1
	global_load_b32 v13, v12, s[14:15] scale_offset
	s_wait_loadcnt 0x0
	ds_store_b32 v11, v13
	s_branch .LBB5_9
.LBB5_17:
	s_load_b64 s[4:5], s[0:1], 0x50
	s_and_b32 s3, s7, s3
	s_delay_alu instid0(SALU_CYCLE_1) | instskip(NEXT) | instid1(SALU_CYCLE_1)
	s_and_b32 s2, s3, s2
	s_and_saveexec_b32 s3, s2
	s_cbranch_execz .LBB5_21
; %bb.18:
	s_wait_xcnt 0x0
	s_load_b64 s[0:1], s[0:1], 0x58
	s_cmp_neq_f32 s10, 0
	v_mul_f32_e32 v4, s6, v3
	s_wait_kmcnt 0x0
	v_mul_u64_e32 v[6:7], s[0:1], v[0:1]
	v_lshl_add_u32 v0, s22, 1, v8
	s_mov_b32 s0, 0
	s_delay_alu instid0(VALU_DEP_1) | instskip(NEXT) | instid1(VALU_DEP_3)
	v_ashrrev_i32_e32 v1, 31, v0
	v_lshl_add_u64 v[2:3], v[6:7], 2, s[4:5]
	s_cbranch_scc0 .LBB5_22
; %bb.19:
	s_delay_alu instid0(VALU_DEP_1)
	v_lshl_add_u64 v[6:7], v[0:1], 2, v[2:3]
	global_load_b32 v5, v[6:7], off
	s_wait_loadcnt 0x0
	v_fma_f32 v5, s10, v5, v4
	global_store_b32 v[6:7], v5, off
	s_and_not1_b32 vcc_lo, exec_lo, s0
	s_cbranch_vccnz .LBB5_21
.LBB5_20:
	s_delay_alu instid0(VALU_DEP_1)
	v_lshl_add_u64 v[0:1], v[0:1], 2, v[2:3]
	global_store_b32 v[0:1], v4, off
.LBB5_21:
	s_endpgm
.LBB5_22:
	s_branch .LBB5_20
	.section	.rodata,"a",@progbits
	.p2align	6, 0x0
	.amdhsa_kernel _ZN9rocsparseL29gebsrmm_small_blockdim_kernelILi2ELi4ELi4ELi16EfEEv20rocsparse_direction_20rocsparse_operation_iiNS_24const_host_device_scalarIT3_EEPKiS7_PKS4_iiS9_lS5_PS4_l21rocsparse_index_base_b
		.amdhsa_group_segment_fixed_size 320
		.amdhsa_private_segment_fixed_size 0
		.amdhsa_kernarg_size 104
		.amdhsa_user_sgpr_count 2
		.amdhsa_user_sgpr_dispatch_ptr 0
		.amdhsa_user_sgpr_queue_ptr 0
		.amdhsa_user_sgpr_kernarg_segment_ptr 1
		.amdhsa_user_sgpr_dispatch_id 0
		.amdhsa_user_sgpr_kernarg_preload_length 0
		.amdhsa_user_sgpr_kernarg_preload_offset 0
		.amdhsa_user_sgpr_private_segment_size 0
		.amdhsa_wavefront_size32 1
		.amdhsa_uses_dynamic_stack 0
		.amdhsa_enable_private_segment 0
		.amdhsa_system_sgpr_workgroup_id_x 1
		.amdhsa_system_sgpr_workgroup_id_y 1
		.amdhsa_system_sgpr_workgroup_id_z 0
		.amdhsa_system_sgpr_workgroup_info 0
		.amdhsa_system_vgpr_workitem_id 1
		.amdhsa_next_free_vgpr 22
		.amdhsa_next_free_sgpr 28
		.amdhsa_named_barrier_count 0
		.amdhsa_reserve_vcc 1
		.amdhsa_float_round_mode_32 0
		.amdhsa_float_round_mode_16_64 0
		.amdhsa_float_denorm_mode_32 3
		.amdhsa_float_denorm_mode_16_64 3
		.amdhsa_fp16_overflow 0
		.amdhsa_memory_ordered 1
		.amdhsa_forward_progress 1
		.amdhsa_inst_pref_size 8
		.amdhsa_round_robin_scheduling 0
		.amdhsa_exception_fp_ieee_invalid_op 0
		.amdhsa_exception_fp_denorm_src 0
		.amdhsa_exception_fp_ieee_div_zero 0
		.amdhsa_exception_fp_ieee_overflow 0
		.amdhsa_exception_fp_ieee_underflow 0
		.amdhsa_exception_fp_ieee_inexact 0
		.amdhsa_exception_int_div_zero 0
	.end_amdhsa_kernel
	.section	.text._ZN9rocsparseL29gebsrmm_small_blockdim_kernelILi2ELi4ELi4ELi16EfEEv20rocsparse_direction_20rocsparse_operation_iiNS_24const_host_device_scalarIT3_EEPKiS7_PKS4_iiS9_lS5_PS4_l21rocsparse_index_base_b,"axG",@progbits,_ZN9rocsparseL29gebsrmm_small_blockdim_kernelILi2ELi4ELi4ELi16EfEEv20rocsparse_direction_20rocsparse_operation_iiNS_24const_host_device_scalarIT3_EEPKiS7_PKS4_iiS9_lS5_PS4_l21rocsparse_index_base_b,comdat
.Lfunc_end5:
	.size	_ZN9rocsparseL29gebsrmm_small_blockdim_kernelILi2ELi4ELi4ELi16EfEEv20rocsparse_direction_20rocsparse_operation_iiNS_24const_host_device_scalarIT3_EEPKiS7_PKS4_iiS9_lS5_PS4_l21rocsparse_index_base_b, .Lfunc_end5-_ZN9rocsparseL29gebsrmm_small_blockdim_kernelILi2ELi4ELi4ELi16EfEEv20rocsparse_direction_20rocsparse_operation_iiNS_24const_host_device_scalarIT3_EEPKiS7_PKS4_iiS9_lS5_PS4_l21rocsparse_index_base_b
                                        ; -- End function
	.set _ZN9rocsparseL29gebsrmm_small_blockdim_kernelILi2ELi4ELi4ELi16EfEEv20rocsparse_direction_20rocsparse_operation_iiNS_24const_host_device_scalarIT3_EEPKiS7_PKS4_iiS9_lS5_PS4_l21rocsparse_index_base_b.num_vgpr, 22
	.set _ZN9rocsparseL29gebsrmm_small_blockdim_kernelILi2ELi4ELi4ELi16EfEEv20rocsparse_direction_20rocsparse_operation_iiNS_24const_host_device_scalarIT3_EEPKiS7_PKS4_iiS9_lS5_PS4_l21rocsparse_index_base_b.num_agpr, 0
	.set _ZN9rocsparseL29gebsrmm_small_blockdim_kernelILi2ELi4ELi4ELi16EfEEv20rocsparse_direction_20rocsparse_operation_iiNS_24const_host_device_scalarIT3_EEPKiS7_PKS4_iiS9_lS5_PS4_l21rocsparse_index_base_b.numbered_sgpr, 28
	.set _ZN9rocsparseL29gebsrmm_small_blockdim_kernelILi2ELi4ELi4ELi16EfEEv20rocsparse_direction_20rocsparse_operation_iiNS_24const_host_device_scalarIT3_EEPKiS7_PKS4_iiS9_lS5_PS4_l21rocsparse_index_base_b.num_named_barrier, 0
	.set _ZN9rocsparseL29gebsrmm_small_blockdim_kernelILi2ELi4ELi4ELi16EfEEv20rocsparse_direction_20rocsparse_operation_iiNS_24const_host_device_scalarIT3_EEPKiS7_PKS4_iiS9_lS5_PS4_l21rocsparse_index_base_b.private_seg_size, 0
	.set _ZN9rocsparseL29gebsrmm_small_blockdim_kernelILi2ELi4ELi4ELi16EfEEv20rocsparse_direction_20rocsparse_operation_iiNS_24const_host_device_scalarIT3_EEPKiS7_PKS4_iiS9_lS5_PS4_l21rocsparse_index_base_b.uses_vcc, 1
	.set _ZN9rocsparseL29gebsrmm_small_blockdim_kernelILi2ELi4ELi4ELi16EfEEv20rocsparse_direction_20rocsparse_operation_iiNS_24const_host_device_scalarIT3_EEPKiS7_PKS4_iiS9_lS5_PS4_l21rocsparse_index_base_b.uses_flat_scratch, 0
	.set _ZN9rocsparseL29gebsrmm_small_blockdim_kernelILi2ELi4ELi4ELi16EfEEv20rocsparse_direction_20rocsparse_operation_iiNS_24const_host_device_scalarIT3_EEPKiS7_PKS4_iiS9_lS5_PS4_l21rocsparse_index_base_b.has_dyn_sized_stack, 0
	.set _ZN9rocsparseL29gebsrmm_small_blockdim_kernelILi2ELi4ELi4ELi16EfEEv20rocsparse_direction_20rocsparse_operation_iiNS_24const_host_device_scalarIT3_EEPKiS7_PKS4_iiS9_lS5_PS4_l21rocsparse_index_base_b.has_recursion, 0
	.set _ZN9rocsparseL29gebsrmm_small_blockdim_kernelILi2ELi4ELi4ELi16EfEEv20rocsparse_direction_20rocsparse_operation_iiNS_24const_host_device_scalarIT3_EEPKiS7_PKS4_iiS9_lS5_PS4_l21rocsparse_index_base_b.has_indirect_call, 0
	.section	.AMDGPU.csdata,"",@progbits
; Kernel info:
; codeLenInByte = 972
; TotalNumSgprs: 30
; NumVgprs: 22
; ScratchSize: 0
; MemoryBound: 0
; FloatMode: 240
; IeeeMode: 1
; LDSByteSize: 320 bytes/workgroup (compile time only)
; SGPRBlocks: 0
; VGPRBlocks: 1
; NumSGPRsForWavesPerEU: 30
; NumVGPRsForWavesPerEU: 22
; NamedBarCnt: 0
; Occupancy: 16
; WaveLimiterHint : 1
; COMPUTE_PGM_RSRC2:SCRATCH_EN: 0
; COMPUTE_PGM_RSRC2:USER_SGPR: 2
; COMPUTE_PGM_RSRC2:TRAP_HANDLER: 0
; COMPUTE_PGM_RSRC2:TGID_X_EN: 1
; COMPUTE_PGM_RSRC2:TGID_Y_EN: 1
; COMPUTE_PGM_RSRC2:TGID_Z_EN: 0
; COMPUTE_PGM_RSRC2:TIDIG_COMP_CNT: 1
	.section	.text._ZN9rocsparseL29gebsrmm_small_blockdim_kernelILi3ELi1ELi3ELi16EfEEv20rocsparse_direction_20rocsparse_operation_iiNS_24const_host_device_scalarIT3_EEPKiS7_PKS4_iiS9_lS5_PS4_l21rocsparse_index_base_b,"axG",@progbits,_ZN9rocsparseL29gebsrmm_small_blockdim_kernelILi3ELi1ELi3ELi16EfEEv20rocsparse_direction_20rocsparse_operation_iiNS_24const_host_device_scalarIT3_EEPKiS7_PKS4_iiS9_lS5_PS4_l21rocsparse_index_base_b,comdat
	.globl	_ZN9rocsparseL29gebsrmm_small_blockdim_kernelILi3ELi1ELi3ELi16EfEEv20rocsparse_direction_20rocsparse_operation_iiNS_24const_host_device_scalarIT3_EEPKiS7_PKS4_iiS9_lS5_PS4_l21rocsparse_index_base_b ; -- Begin function _ZN9rocsparseL29gebsrmm_small_blockdim_kernelILi3ELi1ELi3ELi16EfEEv20rocsparse_direction_20rocsparse_operation_iiNS_24const_host_device_scalarIT3_EEPKiS7_PKS4_iiS9_lS5_PS4_l21rocsparse_index_base_b
	.p2align	8
	.type	_ZN9rocsparseL29gebsrmm_small_blockdim_kernelILi3ELi1ELi3ELi16EfEEv20rocsparse_direction_20rocsparse_operation_iiNS_24const_host_device_scalarIT3_EEPKiS7_PKS4_iiS9_lS5_PS4_l21rocsparse_index_base_b,@function
_ZN9rocsparseL29gebsrmm_small_blockdim_kernelILi3ELi1ELi3ELi16EfEEv20rocsparse_direction_20rocsparse_operation_iiNS_24const_host_device_scalarIT3_EEPKiS7_PKS4_iiS9_lS5_PS4_l21rocsparse_index_base_b: ; @_ZN9rocsparseL29gebsrmm_small_blockdim_kernelILi3ELi1ELi3ELi16EfEEv20rocsparse_direction_20rocsparse_operation_iiNS_24const_host_device_scalarIT3_EEPKiS7_PKS4_iiS9_lS5_PS4_l21rocsparse_index_base_b
; %bb.0:
	s_clause 0x2
	s_load_b64 s[20:21], s[0:1], 0x60
	s_load_b64 s[6:7], s[0:1], 0x10
	s_load_b128 s[8:11], s[0:1], 0x40
	s_wait_kmcnt 0x0
	s_bitcmp1_b32 s21, 0
	s_cselect_b32 s2, -1, 0
	s_delay_alu instid0(SALU_CYCLE_1)
	s_and_b32 vcc_lo, exec_lo, s2
	s_xor_b32 s2, s2, -1
	s_cbranch_vccnz .LBB6_2
; %bb.1:
	s_load_b32 s6, s[6:7], 0x0
.LBB6_2:
	s_and_not1_b32 vcc_lo, exec_lo, s2
	s_cbranch_vccnz .LBB6_4
; %bb.3:
	s_load_b32 s10, s[10:11], 0x0
.LBB6_4:
	s_wait_kmcnt 0x0
	s_cmp_eq_f32 s6, 0
	s_mov_b32 s24, 0
	s_cselect_b32 s2, -1, 0
	s_cmp_eq_f32 s10, 1.0
	s_cselect_b32 s3, -1, 0
	s_delay_alu instid0(SALU_CYCLE_1) | instskip(NEXT) | instid1(SALU_CYCLE_1)
	s_and_b32 s2, s2, s3
	s_and_b32 vcc_lo, exec_lo, s2
	s_cbranch_vccnz .LBB6_21
; %bb.5:
	s_load_b96 s[16:18], s[0:1], 0x4
	s_bfe_u32 s2, ttmp6, 0x4000c
	s_and_b32 s3, ttmp6, 15
	s_add_co_i32 s2, s2, 1
	s_mov_b32 s11, 0
	s_mul_i32 s4, ttmp9, s2
	s_getreg_b32 s2, hwreg(HW_REG_IB_STS2, 6, 4)
	s_add_co_i32 s3, s3, s4
	s_cmp_eq_u32 s2, 0
	s_cselect_b32 s22, ttmp9, s3
	s_wait_kmcnt 0x0
	s_cmp_lt_i32 s22, s17
	s_cselect_b32 s7, -1, 0
	s_cmp_ge_i32 s22, s17
	s_cbranch_scc1 .LBB6_7
; %bb.6:
	s_load_b64 s[4:5], s[0:1], 0x18
	s_ashr_i32 s23, s22, 31
	s_delay_alu instid0(SALU_CYCLE_1)
	s_lshl_b64 s[12:13], s[22:23], 2
	s_wait_kmcnt 0x0
	s_add_nc_u64 s[4:5], s[4:5], s[12:13]
	s_load_b64 s[12:13], s[4:5], 0x0
	s_wait_kmcnt 0x0
	s_sub_co_i32 s24, s12, s20
	s_sub_co_i32 s11, s13, s20
.LBB6_7:
	s_bfe_u32 s3, ttmp6, 0x40010
	s_bfe_u32 s4, ttmp6, 0x40004
	s_add_co_i32 s3, s3, 1
	v_bfe_u32 v2, v0, 10, 10
	s_mul_i32 s3, ttmp7, s3
	v_and_b32_e32 v6, 0x3ff, v0
	s_add_co_i32 s4, s4, s3
	s_cmp_eq_u32 s2, 0
	v_mov_b32_e32 v7, 0
	s_cselect_b32 s2, ttmp7, s4
	s_cmp_ge_i32 s24, s11
	v_lshl_add_u32 v0, s2, 4, v2
	v_cmp_gt_u32_e64 s2, 3, v6
	s_delay_alu instid0(VALU_DEP_2)
	v_ashrrev_i32_e32 v1, 31, v0
	v_cmp_gt_i32_e64 s3, s18, v0
	s_cbranch_scc1 .LBB6_17
; %bb.8:
	v_mul_u64_e32 v[4:5], s[8:9], v[0:1]
	s_clause 0x1
	s_load_b64 s[26:27], s[0:1], 0x38
	s_load_b128 s[12:15], s[0:1], 0x20
	v_cmp_eq_u32_e64 s4, 0, v2
	v_mul_u32_u24_e32 v2, 3, v2
	v_cmp_eq_u32_e32 vcc_lo, 0, v6
	v_mad_u32 v9, s24, 3, v6
	v_lshl_add_u32 v8, v6, 2, 0xc0
	s_and_b32 s18, s2, s4
	v_add_lshl_u32 v10, v2, v6, 2
	s_and_b32 s17, vcc_lo, s3
	s_cmp_lg_u32 s16, 0x6f
	v_dual_lshlrev_b32 v11, 2, v2 :: v_dual_mov_b32 v7, 0
	s_cselect_b32 s16, -1, 0
	s_ashr_i32 s25, s24, 31
	v_add_nc_u32_e32 v12, 0xc0, v10
	s_lshl_b64 s[4:5], s[24:25], 2
	s_wait_kmcnt 0x0
	v_lshl_add_u64 v[2:3], v[0:1], 2, s[26:27]
	s_add_nc_u64 s[4:5], s[12:13], s[4:5]
	v_lshl_add_u64 v[4:5], v[4:5], 2, s[26:27]
	s_branch .LBB6_10
.LBB6_9:                                ;   in Loop: Header=BB6_10 Depth=1
	s_or_b32 exec_lo, exec_lo, s12
	s_wait_dscnt 0x0
	s_barrier_signal -1
	s_barrier_wait -1
	ds_load_b32 v13, v8
	ds_load_b32 v14, v11
	s_add_co_i32 s24, s24, 1
	s_add_nc_u64 s[4:5], s[4:5], 4
	s_cmp_ge_i32 s24, s11
	s_wait_dscnt 0x0
	s_barrier_signal -1
	s_barrier_wait -1
	v_dual_add_nc_u32 v9, 3, v9 :: v_dual_fmac_f32 v7, v13, v14
	s_cbranch_scc1 .LBB6_17
.LBB6_10:                               ; =>This Inner Loop Header: Depth=1
	v_mov_b32_e32 v13, 0
	s_and_saveexec_b32 s19, s17
	s_cbranch_execz .LBB6_15
; %bb.11:                               ;   in Loop: Header=BB6_10 Depth=1
	s_load_b32 s12, s[4:5], 0x0
	s_mov_b32 s21, -1
	s_and_b32 vcc_lo, exec_lo, s16
                                        ; implicit-def: $vgpr13
	s_wait_kmcnt 0x0
	s_sub_co_i32 s12, s12, s20
	s_delay_alu instid0(SALU_CYCLE_1)
	s_ashr_i32 s13, s12, 31
	s_cbranch_vccz .LBB6_13
; %bb.12:                               ;   in Loop: Header=BB6_10 Depth=1
	s_mul_u64 s[26:27], s[8:9], s[12:13]
	s_mov_b32 s21, 0
	v_lshl_add_u64 v[14:15], s[26:27], 2, v[2:3]
	global_load_b32 v13, v[14:15], off
.LBB6_13:                               ;   in Loop: Header=BB6_10 Depth=1
	s_and_not1_b32 vcc_lo, exec_lo, s21
	s_cbranch_vccnz .LBB6_15
; %bb.14:                               ;   in Loop: Header=BB6_10 Depth=1
	s_wait_xcnt 0x0
	v_lshl_add_u64 v[14:15], s[12:13], 2, v[4:5]
	s_wait_loadcnt 0x0
	global_load_b32 v13, v[14:15], off
.LBB6_15:                               ;   in Loop: Header=BB6_10 Depth=1
	s_wait_xcnt 0x0
	s_or_b32 exec_lo, exec_lo, s19
	s_wait_loadcnt 0x0
	ds_store_b32 v10, v13
	s_and_saveexec_b32 s12, s18
	s_cbranch_execz .LBB6_9
; %bb.16:                               ;   in Loop: Header=BB6_10 Depth=1
	global_load_b32 v13, v9, s[14:15] scale_offset
	s_wait_loadcnt 0x0
	ds_store_b32 v12, v13
	s_branch .LBB6_9
.LBB6_17:
	s_load_b64 s[4:5], s[0:1], 0x50
	s_and_b32 s3, s7, s3
	s_delay_alu instid0(SALU_CYCLE_1) | instskip(NEXT) | instid1(SALU_CYCLE_1)
	s_and_b32 s2, s3, s2
	s_and_saveexec_b32 s3, s2
	s_cbranch_execz .LBB6_21
; %bb.18:
	s_wait_xcnt 0x0
	s_load_b64 s[0:1], s[0:1], 0x58
	s_cmp_neq_f32 s10, 0
	v_mul_f32_e32 v4, s6, v7
	s_wait_kmcnt 0x0
	v_mul_u64_e32 v[2:3], s[0:1], v[0:1]
	v_mad_u32 v0, s22, 3, v6
	s_mov_b32 s0, 0
	s_delay_alu instid0(VALU_DEP_1) | instskip(NEXT) | instid1(VALU_DEP_3)
	v_ashrrev_i32_e32 v1, 31, v0
	v_lshl_add_u64 v[2:3], v[2:3], 2, s[4:5]
	s_cbranch_scc0 .LBB6_22
; %bb.19:
	s_delay_alu instid0(VALU_DEP_1)
	v_lshl_add_u64 v[6:7], v[0:1], 2, v[2:3]
	global_load_b32 v5, v[6:7], off
	s_wait_loadcnt 0x0
	v_fma_f32 v5, s10, v5, v4
	global_store_b32 v[6:7], v5, off
	s_and_not1_b32 vcc_lo, exec_lo, s0
	s_cbranch_vccnz .LBB6_21
.LBB6_20:
	s_delay_alu instid0(VALU_DEP_1)
	v_lshl_add_u64 v[0:1], v[0:1], 2, v[2:3]
	global_store_b32 v[0:1], v4, off
.LBB6_21:
	s_endpgm
.LBB6_22:
	s_branch .LBB6_20
	.section	.rodata,"a",@progbits
	.p2align	6, 0x0
	.amdhsa_kernel _ZN9rocsparseL29gebsrmm_small_blockdim_kernelILi3ELi1ELi3ELi16EfEEv20rocsparse_direction_20rocsparse_operation_iiNS_24const_host_device_scalarIT3_EEPKiS7_PKS4_iiS9_lS5_PS4_l21rocsparse_index_base_b
		.amdhsa_group_segment_fixed_size 228
		.amdhsa_private_segment_fixed_size 0
		.amdhsa_kernarg_size 104
		.amdhsa_user_sgpr_count 2
		.amdhsa_user_sgpr_dispatch_ptr 0
		.amdhsa_user_sgpr_queue_ptr 0
		.amdhsa_user_sgpr_kernarg_segment_ptr 1
		.amdhsa_user_sgpr_dispatch_id 0
		.amdhsa_user_sgpr_kernarg_preload_length 0
		.amdhsa_user_sgpr_kernarg_preload_offset 0
		.amdhsa_user_sgpr_private_segment_size 0
		.amdhsa_wavefront_size32 1
		.amdhsa_uses_dynamic_stack 0
		.amdhsa_enable_private_segment 0
		.amdhsa_system_sgpr_workgroup_id_x 1
		.amdhsa_system_sgpr_workgroup_id_y 1
		.amdhsa_system_sgpr_workgroup_id_z 0
		.amdhsa_system_sgpr_workgroup_info 0
		.amdhsa_system_vgpr_workitem_id 1
		.amdhsa_next_free_vgpr 16
		.amdhsa_next_free_sgpr 28
		.amdhsa_named_barrier_count 0
		.amdhsa_reserve_vcc 1
		.amdhsa_float_round_mode_32 0
		.amdhsa_float_round_mode_16_64 0
		.amdhsa_float_denorm_mode_32 3
		.amdhsa_float_denorm_mode_16_64 3
		.amdhsa_fp16_overflow 0
		.amdhsa_memory_ordered 1
		.amdhsa_forward_progress 1
		.amdhsa_inst_pref_size 7
		.amdhsa_round_robin_scheduling 0
		.amdhsa_exception_fp_ieee_invalid_op 0
		.amdhsa_exception_fp_denorm_src 0
		.amdhsa_exception_fp_ieee_div_zero 0
		.amdhsa_exception_fp_ieee_overflow 0
		.amdhsa_exception_fp_ieee_underflow 0
		.amdhsa_exception_fp_ieee_inexact 0
		.amdhsa_exception_int_div_zero 0
	.end_amdhsa_kernel
	.section	.text._ZN9rocsparseL29gebsrmm_small_blockdim_kernelILi3ELi1ELi3ELi16EfEEv20rocsparse_direction_20rocsparse_operation_iiNS_24const_host_device_scalarIT3_EEPKiS7_PKS4_iiS9_lS5_PS4_l21rocsparse_index_base_b,"axG",@progbits,_ZN9rocsparseL29gebsrmm_small_blockdim_kernelILi3ELi1ELi3ELi16EfEEv20rocsparse_direction_20rocsparse_operation_iiNS_24const_host_device_scalarIT3_EEPKiS7_PKS4_iiS9_lS5_PS4_l21rocsparse_index_base_b,comdat
.Lfunc_end6:
	.size	_ZN9rocsparseL29gebsrmm_small_blockdim_kernelILi3ELi1ELi3ELi16EfEEv20rocsparse_direction_20rocsparse_operation_iiNS_24const_host_device_scalarIT3_EEPKiS7_PKS4_iiS9_lS5_PS4_l21rocsparse_index_base_b, .Lfunc_end6-_ZN9rocsparseL29gebsrmm_small_blockdim_kernelILi3ELi1ELi3ELi16EfEEv20rocsparse_direction_20rocsparse_operation_iiNS_24const_host_device_scalarIT3_EEPKiS7_PKS4_iiS9_lS5_PS4_l21rocsparse_index_base_b
                                        ; -- End function
	.set _ZN9rocsparseL29gebsrmm_small_blockdim_kernelILi3ELi1ELi3ELi16EfEEv20rocsparse_direction_20rocsparse_operation_iiNS_24const_host_device_scalarIT3_EEPKiS7_PKS4_iiS9_lS5_PS4_l21rocsparse_index_base_b.num_vgpr, 16
	.set _ZN9rocsparseL29gebsrmm_small_blockdim_kernelILi3ELi1ELi3ELi16EfEEv20rocsparse_direction_20rocsparse_operation_iiNS_24const_host_device_scalarIT3_EEPKiS7_PKS4_iiS9_lS5_PS4_l21rocsparse_index_base_b.num_agpr, 0
	.set _ZN9rocsparseL29gebsrmm_small_blockdim_kernelILi3ELi1ELi3ELi16EfEEv20rocsparse_direction_20rocsparse_operation_iiNS_24const_host_device_scalarIT3_EEPKiS7_PKS4_iiS9_lS5_PS4_l21rocsparse_index_base_b.numbered_sgpr, 28
	.set _ZN9rocsparseL29gebsrmm_small_blockdim_kernelILi3ELi1ELi3ELi16EfEEv20rocsparse_direction_20rocsparse_operation_iiNS_24const_host_device_scalarIT3_EEPKiS7_PKS4_iiS9_lS5_PS4_l21rocsparse_index_base_b.num_named_barrier, 0
	.set _ZN9rocsparseL29gebsrmm_small_blockdim_kernelILi3ELi1ELi3ELi16EfEEv20rocsparse_direction_20rocsparse_operation_iiNS_24const_host_device_scalarIT3_EEPKiS7_PKS4_iiS9_lS5_PS4_l21rocsparse_index_base_b.private_seg_size, 0
	.set _ZN9rocsparseL29gebsrmm_small_blockdim_kernelILi3ELi1ELi3ELi16EfEEv20rocsparse_direction_20rocsparse_operation_iiNS_24const_host_device_scalarIT3_EEPKiS7_PKS4_iiS9_lS5_PS4_l21rocsparse_index_base_b.uses_vcc, 1
	.set _ZN9rocsparseL29gebsrmm_small_blockdim_kernelILi3ELi1ELi3ELi16EfEEv20rocsparse_direction_20rocsparse_operation_iiNS_24const_host_device_scalarIT3_EEPKiS7_PKS4_iiS9_lS5_PS4_l21rocsparse_index_base_b.uses_flat_scratch, 0
	.set _ZN9rocsparseL29gebsrmm_small_blockdim_kernelILi3ELi1ELi3ELi16EfEEv20rocsparse_direction_20rocsparse_operation_iiNS_24const_host_device_scalarIT3_EEPKiS7_PKS4_iiS9_lS5_PS4_l21rocsparse_index_base_b.has_dyn_sized_stack, 0
	.set _ZN9rocsparseL29gebsrmm_small_blockdim_kernelILi3ELi1ELi3ELi16EfEEv20rocsparse_direction_20rocsparse_operation_iiNS_24const_host_device_scalarIT3_EEPKiS7_PKS4_iiS9_lS5_PS4_l21rocsparse_index_base_b.has_recursion, 0
	.set _ZN9rocsparseL29gebsrmm_small_blockdim_kernelILi3ELi1ELi3ELi16EfEEv20rocsparse_direction_20rocsparse_operation_iiNS_24const_host_device_scalarIT3_EEPKiS7_PKS4_iiS9_lS5_PS4_l21rocsparse_index_base_b.has_indirect_call, 0
	.section	.AMDGPU.csdata,"",@progbits
; Kernel info:
; codeLenInByte = 892
; TotalNumSgprs: 30
; NumVgprs: 16
; ScratchSize: 0
; MemoryBound: 0
; FloatMode: 240
; IeeeMode: 1
; LDSByteSize: 228 bytes/workgroup (compile time only)
; SGPRBlocks: 0
; VGPRBlocks: 0
; NumSGPRsForWavesPerEU: 30
; NumVGPRsForWavesPerEU: 16
; NamedBarCnt: 0
; Occupancy: 16
; WaveLimiterHint : 1
; COMPUTE_PGM_RSRC2:SCRATCH_EN: 0
; COMPUTE_PGM_RSRC2:USER_SGPR: 2
; COMPUTE_PGM_RSRC2:TRAP_HANDLER: 0
; COMPUTE_PGM_RSRC2:TGID_X_EN: 1
; COMPUTE_PGM_RSRC2:TGID_Y_EN: 1
; COMPUTE_PGM_RSRC2:TGID_Z_EN: 0
; COMPUTE_PGM_RSRC2:TIDIG_COMP_CNT: 1
	.section	.text._ZN9rocsparseL29gebsrmm_small_blockdim_kernelILi3ELi2ELi3ELi16EfEEv20rocsparse_direction_20rocsparse_operation_iiNS_24const_host_device_scalarIT3_EEPKiS7_PKS4_iiS9_lS5_PS4_l21rocsparse_index_base_b,"axG",@progbits,_ZN9rocsparseL29gebsrmm_small_blockdim_kernelILi3ELi2ELi3ELi16EfEEv20rocsparse_direction_20rocsparse_operation_iiNS_24const_host_device_scalarIT3_EEPKiS7_PKS4_iiS9_lS5_PS4_l21rocsparse_index_base_b,comdat
	.globl	_ZN9rocsparseL29gebsrmm_small_blockdim_kernelILi3ELi2ELi3ELi16EfEEv20rocsparse_direction_20rocsparse_operation_iiNS_24const_host_device_scalarIT3_EEPKiS7_PKS4_iiS9_lS5_PS4_l21rocsparse_index_base_b ; -- Begin function _ZN9rocsparseL29gebsrmm_small_blockdim_kernelILi3ELi2ELi3ELi16EfEEv20rocsparse_direction_20rocsparse_operation_iiNS_24const_host_device_scalarIT3_EEPKiS7_PKS4_iiS9_lS5_PS4_l21rocsparse_index_base_b
	.p2align	8
	.type	_ZN9rocsparseL29gebsrmm_small_blockdim_kernelILi3ELi2ELi3ELi16EfEEv20rocsparse_direction_20rocsparse_operation_iiNS_24const_host_device_scalarIT3_EEPKiS7_PKS4_iiS9_lS5_PS4_l21rocsparse_index_base_b,@function
_ZN9rocsparseL29gebsrmm_small_blockdim_kernelILi3ELi2ELi3ELi16EfEEv20rocsparse_direction_20rocsparse_operation_iiNS_24const_host_device_scalarIT3_EEPKiS7_PKS4_iiS9_lS5_PS4_l21rocsparse_index_base_b: ; @_ZN9rocsparseL29gebsrmm_small_blockdim_kernelILi3ELi2ELi3ELi16EfEEv20rocsparse_direction_20rocsparse_operation_iiNS_24const_host_device_scalarIT3_EEPKiS7_PKS4_iiS9_lS5_PS4_l21rocsparse_index_base_b
; %bb.0:
	s_clause 0x2
	s_load_b64 s[20:21], s[0:1], 0x60
	s_load_b64 s[6:7], s[0:1], 0x10
	s_load_b128 s[8:11], s[0:1], 0x40
	s_wait_kmcnt 0x0
	s_bitcmp1_b32 s21, 0
	s_cselect_b32 s2, -1, 0
	s_delay_alu instid0(SALU_CYCLE_1)
	s_and_b32 vcc_lo, exec_lo, s2
	s_xor_b32 s2, s2, -1
	s_cbranch_vccnz .LBB7_2
; %bb.1:
	s_load_b32 s6, s[6:7], 0x0
.LBB7_2:
	s_and_not1_b32 vcc_lo, exec_lo, s2
	s_cbranch_vccnz .LBB7_4
; %bb.3:
	s_load_b32 s10, s[10:11], 0x0
.LBB7_4:
	s_wait_kmcnt 0x0
	s_cmp_eq_f32 s6, 0
	s_mov_b32 s24, 0
	s_cselect_b32 s2, -1, 0
	s_cmp_eq_f32 s10, 1.0
	s_cselect_b32 s3, -1, 0
	s_delay_alu instid0(SALU_CYCLE_1) | instskip(NEXT) | instid1(SALU_CYCLE_1)
	s_and_b32 s2, s2, s3
	s_and_b32 vcc_lo, exec_lo, s2
	s_cbranch_vccnz .LBB7_21
; %bb.5:
	s_load_b128 s[16:19], s[0:1], 0x0
	s_bfe_u32 s2, ttmp6, 0x4000c
	s_and_b32 s3, ttmp6, 15
	s_add_co_i32 s2, s2, 1
	s_mov_b32 s11, 0
	s_mul_i32 s4, ttmp9, s2
	s_getreg_b32 s2, hwreg(HW_REG_IB_STS2, 6, 4)
	s_add_co_i32 s3, s3, s4
	s_cmp_eq_u32 s2, 0
	s_cselect_b32 s22, ttmp9, s3
	s_wait_kmcnt 0x0
	s_cmp_lt_i32 s22, s18
	s_cselect_b32 s7, -1, 0
	s_cmp_ge_i32 s22, s18
	s_cbranch_scc1 .LBB7_7
; %bb.6:
	s_load_b64 s[4:5], s[0:1], 0x18
	s_ashr_i32 s23, s22, 31
	s_delay_alu instid0(SALU_CYCLE_1)
	s_lshl_b64 s[12:13], s[22:23], 2
	s_wait_kmcnt 0x0
	s_add_nc_u64 s[4:5], s[4:5], s[12:13]
	s_load_b64 s[12:13], s[4:5], 0x0
	s_wait_kmcnt 0x0
	s_sub_co_i32 s24, s12, s20
	s_sub_co_i32 s11, s13, s20
.LBB7_7:
	s_bfe_u32 s3, ttmp6, 0x40010
	s_bfe_u32 s4, ttmp6, 0x40004
	s_add_co_i32 s3, s3, 1
	v_bfe_u32 v4, v0, 10, 10
	s_mul_i32 s3, ttmp7, s3
	v_and_b32_e32 v8, 0x3ff, v0
	s_add_co_i32 s4, s4, s3
	s_cmp_eq_u32 s2, 0
	v_mov_b32_e32 v3, 0
	s_cselect_b32 s2, ttmp7, s4
	s_cmp_ge_i32 s24, s11
	v_lshl_add_u32 v0, s2, 4, v4
	v_cmp_gt_u32_e64 s2, 3, v8
	s_delay_alu instid0(VALU_DEP_2)
	v_ashrrev_i32_e32 v1, 31, v0
	v_cmp_gt_i32_e64 s3, s19, v0
	s_cbranch_scc1 .LBB7_17
; %bb.8:
	v_mul_u64_e32 v[6:7], s[8:9], v[0:1]
	s_clause 0x1
	s_load_b64 s[26:27], s[0:1], 0x38
	s_load_b128 s[12:15], s[0:1], 0x20
	v_cmp_gt_u32_e32 vcc_lo, 2, v8
	v_cmp_gt_u32_e64 s4, 2, v4
	v_mad_u32_u24 v3, v4, 3, v8
	v_lshl_add_u32 v5, v8, 1, v4
	v_mul_u32_u24_e32 v12, 3, v4
	s_and_b32 s18, s3, vcc_lo
	s_and_b32 s19, s2, s4
	s_cmp_lg_u32 s17, 0x6f
	v_lshlrev_b32_e32 v9, 2, v3
	s_cselect_b32 s17, -1, 0
	s_cmp_eq_u32 s16, 0
	v_lshlrev_b32_e32 v12, 2, v12
	s_cselect_b32 vcc_lo, -1, 0
	v_dual_cndmask_b32 v5, v3, v5 :: v_dual_lshlrev_b32 v2, 2, v8
	v_mov_b32_e32 v3, 0
	s_ashr_i32 s25, s24, 31
	v_add_nc_u32_e32 v11, 0xc0, v9
	s_lshl_b64 s[4:5], s[24:25], 2
	v_mad_u32 v10, s24, 6, v5
	s_wait_kmcnt 0x0
	v_lshl_add_u64 v[4:5], v[0:1], 2, s[26:27]
	s_add_nc_u64 s[4:5], s[12:13], s[4:5]
	v_lshl_add_u64 v[6:7], v[6:7], 2, s[26:27]
	s_delay_alu instid0(VALU_DEP_1)
	v_add_nc_u64_e32 v[6:7], v[6:7], v[2:3]
	v_add_nc_u32_e32 v2, 0xc0, v2
	s_branch .LBB7_10
.LBB7_9:                                ;   in Loop: Header=BB7_10 Depth=1
	s_or_b32 exec_lo, exec_lo, s12
	s_wait_dscnt 0x0
	s_barrier_signal -1
	s_barrier_wait -1
	ds_load_2addr_b32 v[14:15], v12 offset1:1
	ds_load_2addr_b32 v[16:17], v2 offset1:3
	s_add_co_i32 s24, s24, 1
	s_add_nc_u64 s[4:5], s[4:5], 4
	s_cmp_ge_i32 s24, s11
	s_wait_dscnt 0x0
	s_barrier_signal -1
	s_barrier_wait -1
	v_add_nc_u32_e32 v10, 6, v10
	v_fmac_f32_e32 v3, v16, v14
	s_delay_alu instid0(VALU_DEP_1)
	v_fmac_f32_e32 v3, v17, v15
	s_cbranch_scc1 .LBB7_17
.LBB7_10:                               ; =>This Inner Loop Header: Depth=1
	v_mov_b32_e32 v13, 0
	s_and_saveexec_b32 s16, s18
	s_cbranch_execz .LBB7_15
; %bb.11:                               ;   in Loop: Header=BB7_10 Depth=1
	s_load_b32 s12, s[4:5], 0x0
	s_mov_b32 s13, -1
	s_and_b32 vcc_lo, exec_lo, s17
                                        ; implicit-def: $vgpr13
	s_wait_kmcnt 0x0
	s_sub_co_i32 s12, s12, s20
	s_delay_alu instid0(SALU_CYCLE_1)
	s_lshl_b32 s12, s12, 1
	s_cbranch_vccz .LBB7_13
; %bb.12:                               ;   in Loop: Header=BB7_10 Depth=1
	v_or_b32_e32 v14, s12, v8
	s_mov_b32 s13, 0
	s_delay_alu instid0(VALU_DEP_1) | instskip(NEXT) | instid1(VALU_DEP_1)
	v_ashrrev_i32_e32 v15, 31, v14
	v_mul_u64_e32 v[14:15], s[8:9], v[14:15]
	s_delay_alu instid0(VALU_DEP_1)
	v_lshl_add_u64 v[14:15], v[14:15], 2, v[4:5]
	global_load_b32 v13, v[14:15], off
.LBB7_13:                               ;   in Loop: Header=BB7_10 Depth=1
	s_and_not1_b32 vcc_lo, exec_lo, s13
	s_cbranch_vccnz .LBB7_15
; %bb.14:                               ;   in Loop: Header=BB7_10 Depth=1
	s_ashr_i32 s13, s12, 31
	s_wait_xcnt 0x0
	v_lshl_add_u64 v[14:15], s[12:13], 2, v[6:7]
	s_wait_loadcnt 0x0
	global_load_b32 v13, v[14:15], off
.LBB7_15:                               ;   in Loop: Header=BB7_10 Depth=1
	s_wait_xcnt 0x0
	s_or_b32 exec_lo, exec_lo, s16
	s_wait_loadcnt 0x0
	ds_store_b32 v9, v13
	s_and_saveexec_b32 s12, s19
	s_cbranch_execz .LBB7_9
; %bb.16:                               ;   in Loop: Header=BB7_10 Depth=1
	global_load_b32 v13, v10, s[14:15] scale_offset
	s_wait_loadcnt 0x0
	ds_store_b32 v11, v13
	s_branch .LBB7_9
.LBB7_17:
	s_load_b64 s[4:5], s[0:1], 0x50
	s_and_b32 s3, s7, s3
	s_delay_alu instid0(SALU_CYCLE_1) | instskip(NEXT) | instid1(SALU_CYCLE_1)
	s_and_b32 s2, s3, s2
	s_and_saveexec_b32 s3, s2
	s_cbranch_execz .LBB7_21
; %bb.18:
	s_wait_xcnt 0x0
	s_load_b64 s[0:1], s[0:1], 0x58
	s_cmp_neq_f32 s10, 0
	v_mul_f32_e32 v4, s6, v3
	s_wait_kmcnt 0x0
	v_mul_u64_e32 v[6:7], s[0:1], v[0:1]
	v_mad_u32 v0, s22, 3, v8
	s_mov_b32 s0, 0
	s_delay_alu instid0(VALU_DEP_1) | instskip(NEXT) | instid1(VALU_DEP_3)
	v_ashrrev_i32_e32 v1, 31, v0
	v_lshl_add_u64 v[2:3], v[6:7], 2, s[4:5]
	s_cbranch_scc0 .LBB7_22
; %bb.19:
	s_delay_alu instid0(VALU_DEP_1)
	v_lshl_add_u64 v[6:7], v[0:1], 2, v[2:3]
	global_load_b32 v5, v[6:7], off
	s_wait_loadcnt 0x0
	v_fma_f32 v5, s10, v5, v4
	global_store_b32 v[6:7], v5, off
	s_and_not1_b32 vcc_lo, exec_lo, s0
	s_cbranch_vccnz .LBB7_21
.LBB7_20:
	s_delay_alu instid0(VALU_DEP_1)
	v_lshl_add_u64 v[0:1], v[0:1], 2, v[2:3]
	global_store_b32 v[0:1], v4, off
.LBB7_21:
	s_endpgm
.LBB7_22:
	s_branch .LBB7_20
	.section	.rodata,"a",@progbits
	.p2align	6, 0x0
	.amdhsa_kernel _ZN9rocsparseL29gebsrmm_small_blockdim_kernelILi3ELi2ELi3ELi16EfEEv20rocsparse_direction_20rocsparse_operation_iiNS_24const_host_device_scalarIT3_EEPKiS7_PKS4_iiS9_lS5_PS4_l21rocsparse_index_base_b
		.amdhsa_group_segment_fixed_size 228
		.amdhsa_private_segment_fixed_size 0
		.amdhsa_kernarg_size 104
		.amdhsa_user_sgpr_count 2
		.amdhsa_user_sgpr_dispatch_ptr 0
		.amdhsa_user_sgpr_queue_ptr 0
		.amdhsa_user_sgpr_kernarg_segment_ptr 1
		.amdhsa_user_sgpr_dispatch_id 0
		.amdhsa_user_sgpr_kernarg_preload_length 0
		.amdhsa_user_sgpr_kernarg_preload_offset 0
		.amdhsa_user_sgpr_private_segment_size 0
		.amdhsa_wavefront_size32 1
		.amdhsa_uses_dynamic_stack 0
		.amdhsa_enable_private_segment 0
		.amdhsa_system_sgpr_workgroup_id_x 1
		.amdhsa_system_sgpr_workgroup_id_y 1
		.amdhsa_system_sgpr_workgroup_id_z 0
		.amdhsa_system_sgpr_workgroup_info 0
		.amdhsa_system_vgpr_workitem_id 1
		.amdhsa_next_free_vgpr 18
		.amdhsa_next_free_sgpr 28
		.amdhsa_named_barrier_count 0
		.amdhsa_reserve_vcc 1
		.amdhsa_float_round_mode_32 0
		.amdhsa_float_round_mode_16_64 0
		.amdhsa_float_denorm_mode_32 3
		.amdhsa_float_denorm_mode_16_64 3
		.amdhsa_fp16_overflow 0
		.amdhsa_memory_ordered 1
		.amdhsa_forward_progress 1
		.amdhsa_inst_pref_size 8
		.amdhsa_round_robin_scheduling 0
		.amdhsa_exception_fp_ieee_invalid_op 0
		.amdhsa_exception_fp_denorm_src 0
		.amdhsa_exception_fp_ieee_div_zero 0
		.amdhsa_exception_fp_ieee_overflow 0
		.amdhsa_exception_fp_ieee_underflow 0
		.amdhsa_exception_fp_ieee_inexact 0
		.amdhsa_exception_int_div_zero 0
	.end_amdhsa_kernel
	.section	.text._ZN9rocsparseL29gebsrmm_small_blockdim_kernelILi3ELi2ELi3ELi16EfEEv20rocsparse_direction_20rocsparse_operation_iiNS_24const_host_device_scalarIT3_EEPKiS7_PKS4_iiS9_lS5_PS4_l21rocsparse_index_base_b,"axG",@progbits,_ZN9rocsparseL29gebsrmm_small_blockdim_kernelILi3ELi2ELi3ELi16EfEEv20rocsparse_direction_20rocsparse_operation_iiNS_24const_host_device_scalarIT3_EEPKiS7_PKS4_iiS9_lS5_PS4_l21rocsparse_index_base_b,comdat
.Lfunc_end7:
	.size	_ZN9rocsparseL29gebsrmm_small_blockdim_kernelILi3ELi2ELi3ELi16EfEEv20rocsparse_direction_20rocsparse_operation_iiNS_24const_host_device_scalarIT3_EEPKiS7_PKS4_iiS9_lS5_PS4_l21rocsparse_index_base_b, .Lfunc_end7-_ZN9rocsparseL29gebsrmm_small_blockdim_kernelILi3ELi2ELi3ELi16EfEEv20rocsparse_direction_20rocsparse_operation_iiNS_24const_host_device_scalarIT3_EEPKiS7_PKS4_iiS9_lS5_PS4_l21rocsparse_index_base_b
                                        ; -- End function
	.set _ZN9rocsparseL29gebsrmm_small_blockdim_kernelILi3ELi2ELi3ELi16EfEEv20rocsparse_direction_20rocsparse_operation_iiNS_24const_host_device_scalarIT3_EEPKiS7_PKS4_iiS9_lS5_PS4_l21rocsparse_index_base_b.num_vgpr, 18
	.set _ZN9rocsparseL29gebsrmm_small_blockdim_kernelILi3ELi2ELi3ELi16EfEEv20rocsparse_direction_20rocsparse_operation_iiNS_24const_host_device_scalarIT3_EEPKiS7_PKS4_iiS9_lS5_PS4_l21rocsparse_index_base_b.num_agpr, 0
	.set _ZN9rocsparseL29gebsrmm_small_blockdim_kernelILi3ELi2ELi3ELi16EfEEv20rocsparse_direction_20rocsparse_operation_iiNS_24const_host_device_scalarIT3_EEPKiS7_PKS4_iiS9_lS5_PS4_l21rocsparse_index_base_b.numbered_sgpr, 28
	.set _ZN9rocsparseL29gebsrmm_small_blockdim_kernelILi3ELi2ELi3ELi16EfEEv20rocsparse_direction_20rocsparse_operation_iiNS_24const_host_device_scalarIT3_EEPKiS7_PKS4_iiS9_lS5_PS4_l21rocsparse_index_base_b.num_named_barrier, 0
	.set _ZN9rocsparseL29gebsrmm_small_blockdim_kernelILi3ELi2ELi3ELi16EfEEv20rocsparse_direction_20rocsparse_operation_iiNS_24const_host_device_scalarIT3_EEPKiS7_PKS4_iiS9_lS5_PS4_l21rocsparse_index_base_b.private_seg_size, 0
	.set _ZN9rocsparseL29gebsrmm_small_blockdim_kernelILi3ELi2ELi3ELi16EfEEv20rocsparse_direction_20rocsparse_operation_iiNS_24const_host_device_scalarIT3_EEPKiS7_PKS4_iiS9_lS5_PS4_l21rocsparse_index_base_b.uses_vcc, 1
	.set _ZN9rocsparseL29gebsrmm_small_blockdim_kernelILi3ELi2ELi3ELi16EfEEv20rocsparse_direction_20rocsparse_operation_iiNS_24const_host_device_scalarIT3_EEPKiS7_PKS4_iiS9_lS5_PS4_l21rocsparse_index_base_b.uses_flat_scratch, 0
	.set _ZN9rocsparseL29gebsrmm_small_blockdim_kernelILi3ELi2ELi3ELi16EfEEv20rocsparse_direction_20rocsparse_operation_iiNS_24const_host_device_scalarIT3_EEPKiS7_PKS4_iiS9_lS5_PS4_l21rocsparse_index_base_b.has_dyn_sized_stack, 0
	.set _ZN9rocsparseL29gebsrmm_small_blockdim_kernelILi3ELi2ELi3ELi16EfEEv20rocsparse_direction_20rocsparse_operation_iiNS_24const_host_device_scalarIT3_EEPKiS7_PKS4_iiS9_lS5_PS4_l21rocsparse_index_base_b.has_recursion, 0
	.set _ZN9rocsparseL29gebsrmm_small_blockdim_kernelILi3ELi2ELi3ELi16EfEEv20rocsparse_direction_20rocsparse_operation_iiNS_24const_host_device_scalarIT3_EEPKiS7_PKS4_iiS9_lS5_PS4_l21rocsparse_index_base_b.has_indirect_call, 0
	.section	.AMDGPU.csdata,"",@progbits
; Kernel info:
; codeLenInByte = 944
; TotalNumSgprs: 30
; NumVgprs: 18
; ScratchSize: 0
; MemoryBound: 0
; FloatMode: 240
; IeeeMode: 1
; LDSByteSize: 228 bytes/workgroup (compile time only)
; SGPRBlocks: 0
; VGPRBlocks: 1
; NumSGPRsForWavesPerEU: 30
; NumVGPRsForWavesPerEU: 18
; NamedBarCnt: 0
; Occupancy: 16
; WaveLimiterHint : 1
; COMPUTE_PGM_RSRC2:SCRATCH_EN: 0
; COMPUTE_PGM_RSRC2:USER_SGPR: 2
; COMPUTE_PGM_RSRC2:TRAP_HANDLER: 0
; COMPUTE_PGM_RSRC2:TGID_X_EN: 1
; COMPUTE_PGM_RSRC2:TGID_Y_EN: 1
; COMPUTE_PGM_RSRC2:TGID_Z_EN: 0
; COMPUTE_PGM_RSRC2:TIDIG_COMP_CNT: 1
	.section	.text._ZN9rocsparseL29gebsrmm_small_blockdim_kernelILi3ELi4ELi4ELi16EfEEv20rocsparse_direction_20rocsparse_operation_iiNS_24const_host_device_scalarIT3_EEPKiS7_PKS4_iiS9_lS5_PS4_l21rocsparse_index_base_b,"axG",@progbits,_ZN9rocsparseL29gebsrmm_small_blockdim_kernelILi3ELi4ELi4ELi16EfEEv20rocsparse_direction_20rocsparse_operation_iiNS_24const_host_device_scalarIT3_EEPKiS7_PKS4_iiS9_lS5_PS4_l21rocsparse_index_base_b,comdat
	.globl	_ZN9rocsparseL29gebsrmm_small_blockdim_kernelILi3ELi4ELi4ELi16EfEEv20rocsparse_direction_20rocsparse_operation_iiNS_24const_host_device_scalarIT3_EEPKiS7_PKS4_iiS9_lS5_PS4_l21rocsparse_index_base_b ; -- Begin function _ZN9rocsparseL29gebsrmm_small_blockdim_kernelILi3ELi4ELi4ELi16EfEEv20rocsparse_direction_20rocsparse_operation_iiNS_24const_host_device_scalarIT3_EEPKiS7_PKS4_iiS9_lS5_PS4_l21rocsparse_index_base_b
	.p2align	8
	.type	_ZN9rocsparseL29gebsrmm_small_blockdim_kernelILi3ELi4ELi4ELi16EfEEv20rocsparse_direction_20rocsparse_operation_iiNS_24const_host_device_scalarIT3_EEPKiS7_PKS4_iiS9_lS5_PS4_l21rocsparse_index_base_b,@function
_ZN9rocsparseL29gebsrmm_small_blockdim_kernelILi3ELi4ELi4ELi16EfEEv20rocsparse_direction_20rocsparse_operation_iiNS_24const_host_device_scalarIT3_EEPKiS7_PKS4_iiS9_lS5_PS4_l21rocsparse_index_base_b: ; @_ZN9rocsparseL29gebsrmm_small_blockdim_kernelILi3ELi4ELi4ELi16EfEEv20rocsparse_direction_20rocsparse_operation_iiNS_24const_host_device_scalarIT3_EEPKiS7_PKS4_iiS9_lS5_PS4_l21rocsparse_index_base_b
; %bb.0:
	s_clause 0x2
	s_load_b64 s[20:21], s[0:1], 0x60
	s_load_b64 s[6:7], s[0:1], 0x10
	s_load_b128 s[8:11], s[0:1], 0x40
	s_wait_kmcnt 0x0
	s_bitcmp1_b32 s21, 0
	s_cselect_b32 s2, -1, 0
	s_delay_alu instid0(SALU_CYCLE_1)
	s_and_b32 vcc_lo, exec_lo, s2
	s_xor_b32 s2, s2, -1
	s_cbranch_vccnz .LBB8_2
; %bb.1:
	s_load_b32 s6, s[6:7], 0x0
.LBB8_2:
	s_and_not1_b32 vcc_lo, exec_lo, s2
	s_cbranch_vccnz .LBB8_4
; %bb.3:
	s_load_b32 s10, s[10:11], 0x0
.LBB8_4:
	s_wait_kmcnt 0x0
	s_cmp_eq_f32 s6, 0
	s_mov_b32 s24, 0
	s_cselect_b32 s2, -1, 0
	s_cmp_eq_f32 s10, 1.0
	s_cselect_b32 s3, -1, 0
	s_delay_alu instid0(SALU_CYCLE_1) | instskip(NEXT) | instid1(SALU_CYCLE_1)
	s_and_b32 s2, s2, s3
	s_and_b32 vcc_lo, exec_lo, s2
	s_cbranch_vccnz .LBB8_21
; %bb.5:
	s_load_b128 s[16:19], s[0:1], 0x0
	s_bfe_u32 s2, ttmp6, 0x4000c
	s_and_b32 s3, ttmp6, 15
	s_add_co_i32 s2, s2, 1
	s_mov_b32 s11, 0
	s_mul_i32 s4, ttmp9, s2
	s_getreg_b32 s2, hwreg(HW_REG_IB_STS2, 6, 4)
	s_add_co_i32 s3, s3, s4
	s_cmp_eq_u32 s2, 0
	s_cselect_b32 s22, ttmp9, s3
	s_wait_kmcnt 0x0
	s_cmp_lt_i32 s22, s18
	s_cselect_b32 s7, -1, 0
	s_cmp_ge_i32 s22, s18
	s_cbranch_scc1 .LBB8_7
; %bb.6:
	s_load_b64 s[4:5], s[0:1], 0x18
	s_ashr_i32 s23, s22, 31
	s_delay_alu instid0(SALU_CYCLE_1)
	s_lshl_b64 s[12:13], s[22:23], 2
	s_wait_kmcnt 0x0
	s_add_nc_u64 s[4:5], s[4:5], s[12:13]
	s_load_b64 s[12:13], s[4:5], 0x0
	s_wait_kmcnt 0x0
	s_sub_co_i32 s24, s12, s20
	s_sub_co_i32 s11, s13, s20
.LBB8_7:
	s_bfe_u32 s3, ttmp6, 0x40010
	s_bfe_u32 s4, ttmp6, 0x40004
	s_add_co_i32 s3, s3, 1
	v_bfe_u32 v12, v0, 10, 10
	s_mul_i32 s3, ttmp7, s3
	v_and_b32_e32 v8, 0x3ff, v0
	s_add_co_i32 s4, s4, s3
	s_cmp_eq_u32 s2, 0
	v_mov_b32_e32 v3, 0
	s_cselect_b32 s2, ttmp7, s4
	s_cmp_ge_i32 s24, s11
	v_lshl_add_u32 v0, s2, 4, v12
	v_cmp_gt_u32_e64 s2, 3, v8
	s_delay_alu instid0(VALU_DEP_2)
	v_ashrrev_i32_e32 v1, 31, v0
	v_cmp_gt_i32_e64 s3, s19, v0
	s_cbranch_scc1 .LBB8_17
; %bb.8:
	v_mul_u64_e32 v[4:5], s[8:9], v[0:1]
	v_cmp_gt_u32_e32 vcc_lo, 4, v8
	v_cmp_gt_u32_e64 s4, 4, v12
	s_clause 0x1
	s_load_b64 s[26:27], s[0:1], 0x38
	s_load_b128 s[12:15], s[0:1], 0x20
	v_lshl_add_u32 v3, v12, 2, v8
	s_and_b32 s18, s3, vcc_lo
	s_and_b32 s19, s2, s4
	s_cmp_lg_u32 s17, 0x6f
	s_cselect_b32 s17, -1, 0
	s_cmp_eq_u32 s16, 0
	v_sub_nc_u32_e32 v6, v3, v12
	s_cselect_b32 vcc_lo, -1, 0
	v_dual_lshlrev_b32 v2, 2, v8 :: v_dual_lshlrev_b32 v9, 2, v3
	v_mov_b32_e32 v3, 0
	s_ashr_i32 s25, s24, 31
	s_delay_alu instid0(VALU_DEP_2) | instskip(NEXT) | instid1(VALU_DEP_3)
	v_add_nc_u32_e32 v7, v2, v12
	v_add_nc_u32_e32 v11, 0x100, v9
	v_lshlrev_b32_e32 v12, 4, v12
	s_lshl_b64 s[4:5], s[24:25], 2
	s_delay_alu instid0(VALU_DEP_3) | instskip(SKIP_2) | instid1(VALU_DEP_1)
	v_cndmask_b32_e32 v10, v6, v7, vcc_lo
	s_wait_kmcnt 0x0
	s_add_nc_u64 s[4:5], s[12:13], s[4:5]
	v_mad_u32 v10, s24, 12, v10
	v_lshl_add_u64 v[6:7], v[4:5], 2, s[26:27]
	v_lshl_add_u64 v[4:5], v[0:1], 2, s[26:27]
	s_delay_alu instid0(VALU_DEP_2)
	v_add_nc_u64_e32 v[6:7], v[6:7], v[2:3]
	v_add_nc_u32_e32 v2, 0x100, v2
	s_branch .LBB8_10
.LBB8_9:                                ;   in Loop: Header=BB8_10 Depth=1
	s_or_b32 exec_lo, exec_lo, s12
	s_wait_dscnt 0x0
	s_barrier_signal -1
	s_barrier_wait -1
	ds_load_b128 v[14:17], v12
	ds_load_2addr_b32 v[18:19], v2 offset1:4
	ds_load_2addr_b32 v[20:21], v2 offset0:8 offset1:12
	s_add_co_i32 s24, s24, 1
	s_add_nc_u64 s[4:5], s[4:5], 4
	s_cmp_ge_i32 s24, s11
	s_wait_dscnt 0x0
	s_barrier_signal -1
	s_barrier_wait -1
	v_add_nc_u32_e32 v10, 12, v10
	v_fmac_f32_e32 v3, v18, v14
	s_delay_alu instid0(VALU_DEP_1) | instskip(NEXT) | instid1(VALU_DEP_1)
	v_fmac_f32_e32 v3, v19, v15
	v_fmac_f32_e32 v3, v20, v16
	s_delay_alu instid0(VALU_DEP_1)
	v_fmac_f32_e32 v3, v21, v17
	s_cbranch_scc1 .LBB8_17
.LBB8_10:                               ; =>This Inner Loop Header: Depth=1
	v_mov_b32_e32 v13, 0
	s_and_saveexec_b32 s16, s18
	s_cbranch_execz .LBB8_15
; %bb.11:                               ;   in Loop: Header=BB8_10 Depth=1
	s_load_b32 s12, s[4:5], 0x0
	s_mov_b32 s13, -1
	s_and_b32 vcc_lo, exec_lo, s17
                                        ; implicit-def: $vgpr13
	s_wait_kmcnt 0x0
	s_sub_co_i32 s12, s12, s20
	s_delay_alu instid0(SALU_CYCLE_1)
	s_lshl_b32 s12, s12, 2
	s_cbranch_vccz .LBB8_13
; %bb.12:                               ;   in Loop: Header=BB8_10 Depth=1
	v_or_b32_e32 v14, s12, v8
	s_mov_b32 s13, 0
	s_delay_alu instid0(VALU_DEP_1) | instskip(NEXT) | instid1(VALU_DEP_1)
	v_ashrrev_i32_e32 v15, 31, v14
	v_mul_u64_e32 v[14:15], s[8:9], v[14:15]
	s_delay_alu instid0(VALU_DEP_1)
	v_lshl_add_u64 v[14:15], v[14:15], 2, v[4:5]
	global_load_b32 v13, v[14:15], off
.LBB8_13:                               ;   in Loop: Header=BB8_10 Depth=1
	s_and_not1_b32 vcc_lo, exec_lo, s13
	s_cbranch_vccnz .LBB8_15
; %bb.14:                               ;   in Loop: Header=BB8_10 Depth=1
	s_ashr_i32 s13, s12, 31
	s_wait_xcnt 0x0
	v_lshl_add_u64 v[14:15], s[12:13], 2, v[6:7]
	s_wait_loadcnt 0x0
	global_load_b32 v13, v[14:15], off
.LBB8_15:                               ;   in Loop: Header=BB8_10 Depth=1
	s_wait_xcnt 0x0
	s_or_b32 exec_lo, exec_lo, s16
	s_wait_loadcnt 0x0
	ds_store_b32 v9, v13
	s_and_saveexec_b32 s12, s19
	s_cbranch_execz .LBB8_9
; %bb.16:                               ;   in Loop: Header=BB8_10 Depth=1
	global_load_b32 v13, v10, s[14:15] scale_offset
	s_wait_loadcnt 0x0
	ds_store_b32 v11, v13
	s_branch .LBB8_9
.LBB8_17:
	s_load_b64 s[4:5], s[0:1], 0x50
	s_and_b32 s3, s7, s3
	s_delay_alu instid0(SALU_CYCLE_1) | instskip(NEXT) | instid1(SALU_CYCLE_1)
	s_and_b32 s2, s3, s2
	s_and_saveexec_b32 s3, s2
	s_cbranch_execz .LBB8_21
; %bb.18:
	s_wait_xcnt 0x0
	s_load_b64 s[0:1], s[0:1], 0x58
	s_cmp_neq_f32 s10, 0
	v_mul_f32_e32 v4, s6, v3
	s_wait_kmcnt 0x0
	v_mul_u64_e32 v[6:7], s[0:1], v[0:1]
	v_mad_u32 v0, s22, 3, v8
	s_mov_b32 s0, 0
	s_delay_alu instid0(VALU_DEP_1) | instskip(NEXT) | instid1(VALU_DEP_3)
	v_ashrrev_i32_e32 v1, 31, v0
	v_lshl_add_u64 v[2:3], v[6:7], 2, s[4:5]
	s_cbranch_scc0 .LBB8_22
; %bb.19:
	s_delay_alu instid0(VALU_DEP_1)
	v_lshl_add_u64 v[6:7], v[0:1], 2, v[2:3]
	global_load_b32 v5, v[6:7], off
	s_wait_loadcnt 0x0
	v_fma_f32 v5, s10, v5, v4
	global_store_b32 v[6:7], v5, off
	s_and_not1_b32 vcc_lo, exec_lo, s0
	s_cbranch_vccnz .LBB8_21
.LBB8_20:
	s_delay_alu instid0(VALU_DEP_1)
	v_lshl_add_u64 v[0:1], v[0:1], 2, v[2:3]
	global_store_b32 v[0:1], v4, off
.LBB8_21:
	s_endpgm
.LBB8_22:
	s_branch .LBB8_20
	.section	.rodata,"a",@progbits
	.p2align	6, 0x0
	.amdhsa_kernel _ZN9rocsparseL29gebsrmm_small_blockdim_kernelILi3ELi4ELi4ELi16EfEEv20rocsparse_direction_20rocsparse_operation_iiNS_24const_host_device_scalarIT3_EEPKiS7_PKS4_iiS9_lS5_PS4_l21rocsparse_index_base_b
		.amdhsa_group_segment_fixed_size 320
		.amdhsa_private_segment_fixed_size 0
		.amdhsa_kernarg_size 104
		.amdhsa_user_sgpr_count 2
		.amdhsa_user_sgpr_dispatch_ptr 0
		.amdhsa_user_sgpr_queue_ptr 0
		.amdhsa_user_sgpr_kernarg_segment_ptr 1
		.amdhsa_user_sgpr_dispatch_id 0
		.amdhsa_user_sgpr_kernarg_preload_length 0
		.amdhsa_user_sgpr_kernarg_preload_offset 0
		.amdhsa_user_sgpr_private_segment_size 0
		.amdhsa_wavefront_size32 1
		.amdhsa_uses_dynamic_stack 0
		.amdhsa_enable_private_segment 0
		.amdhsa_system_sgpr_workgroup_id_x 1
		.amdhsa_system_sgpr_workgroup_id_y 1
		.amdhsa_system_sgpr_workgroup_id_z 0
		.amdhsa_system_sgpr_workgroup_info 0
		.amdhsa_system_vgpr_workitem_id 1
		.amdhsa_next_free_vgpr 22
		.amdhsa_next_free_sgpr 28
		.amdhsa_named_barrier_count 0
		.amdhsa_reserve_vcc 1
		.amdhsa_float_round_mode_32 0
		.amdhsa_float_round_mode_16_64 0
		.amdhsa_float_denorm_mode_32 3
		.amdhsa_float_denorm_mode_16_64 3
		.amdhsa_fp16_overflow 0
		.amdhsa_memory_ordered 1
		.amdhsa_forward_progress 1
		.amdhsa_inst_pref_size 8
		.amdhsa_round_robin_scheduling 0
		.amdhsa_exception_fp_ieee_invalid_op 0
		.amdhsa_exception_fp_denorm_src 0
		.amdhsa_exception_fp_ieee_div_zero 0
		.amdhsa_exception_fp_ieee_overflow 0
		.amdhsa_exception_fp_ieee_underflow 0
		.amdhsa_exception_fp_ieee_inexact 0
		.amdhsa_exception_int_div_zero 0
	.end_amdhsa_kernel
	.section	.text._ZN9rocsparseL29gebsrmm_small_blockdim_kernelILi3ELi4ELi4ELi16EfEEv20rocsparse_direction_20rocsparse_operation_iiNS_24const_host_device_scalarIT3_EEPKiS7_PKS4_iiS9_lS5_PS4_l21rocsparse_index_base_b,"axG",@progbits,_ZN9rocsparseL29gebsrmm_small_blockdim_kernelILi3ELi4ELi4ELi16EfEEv20rocsparse_direction_20rocsparse_operation_iiNS_24const_host_device_scalarIT3_EEPKiS7_PKS4_iiS9_lS5_PS4_l21rocsparse_index_base_b,comdat
.Lfunc_end8:
	.size	_ZN9rocsparseL29gebsrmm_small_blockdim_kernelILi3ELi4ELi4ELi16EfEEv20rocsparse_direction_20rocsparse_operation_iiNS_24const_host_device_scalarIT3_EEPKiS7_PKS4_iiS9_lS5_PS4_l21rocsparse_index_base_b, .Lfunc_end8-_ZN9rocsparseL29gebsrmm_small_blockdim_kernelILi3ELi4ELi4ELi16EfEEv20rocsparse_direction_20rocsparse_operation_iiNS_24const_host_device_scalarIT3_EEPKiS7_PKS4_iiS9_lS5_PS4_l21rocsparse_index_base_b
                                        ; -- End function
	.set _ZN9rocsparseL29gebsrmm_small_blockdim_kernelILi3ELi4ELi4ELi16EfEEv20rocsparse_direction_20rocsparse_operation_iiNS_24const_host_device_scalarIT3_EEPKiS7_PKS4_iiS9_lS5_PS4_l21rocsparse_index_base_b.num_vgpr, 22
	.set _ZN9rocsparseL29gebsrmm_small_blockdim_kernelILi3ELi4ELi4ELi16EfEEv20rocsparse_direction_20rocsparse_operation_iiNS_24const_host_device_scalarIT3_EEPKiS7_PKS4_iiS9_lS5_PS4_l21rocsparse_index_base_b.num_agpr, 0
	.set _ZN9rocsparseL29gebsrmm_small_blockdim_kernelILi3ELi4ELi4ELi16EfEEv20rocsparse_direction_20rocsparse_operation_iiNS_24const_host_device_scalarIT3_EEPKiS7_PKS4_iiS9_lS5_PS4_l21rocsparse_index_base_b.numbered_sgpr, 28
	.set _ZN9rocsparseL29gebsrmm_small_blockdim_kernelILi3ELi4ELi4ELi16EfEEv20rocsparse_direction_20rocsparse_operation_iiNS_24const_host_device_scalarIT3_EEPKiS7_PKS4_iiS9_lS5_PS4_l21rocsparse_index_base_b.num_named_barrier, 0
	.set _ZN9rocsparseL29gebsrmm_small_blockdim_kernelILi3ELi4ELi4ELi16EfEEv20rocsparse_direction_20rocsparse_operation_iiNS_24const_host_device_scalarIT3_EEPKiS7_PKS4_iiS9_lS5_PS4_l21rocsparse_index_base_b.private_seg_size, 0
	.set _ZN9rocsparseL29gebsrmm_small_blockdim_kernelILi3ELi4ELi4ELi16EfEEv20rocsparse_direction_20rocsparse_operation_iiNS_24const_host_device_scalarIT3_EEPKiS7_PKS4_iiS9_lS5_PS4_l21rocsparse_index_base_b.uses_vcc, 1
	.set _ZN9rocsparseL29gebsrmm_small_blockdim_kernelILi3ELi4ELi4ELi16EfEEv20rocsparse_direction_20rocsparse_operation_iiNS_24const_host_device_scalarIT3_EEPKiS7_PKS4_iiS9_lS5_PS4_l21rocsparse_index_base_b.uses_flat_scratch, 0
	.set _ZN9rocsparseL29gebsrmm_small_blockdim_kernelILi3ELi4ELi4ELi16EfEEv20rocsparse_direction_20rocsparse_operation_iiNS_24const_host_device_scalarIT3_EEPKiS7_PKS4_iiS9_lS5_PS4_l21rocsparse_index_base_b.has_dyn_sized_stack, 0
	.set _ZN9rocsparseL29gebsrmm_small_blockdim_kernelILi3ELi4ELi4ELi16EfEEv20rocsparse_direction_20rocsparse_operation_iiNS_24const_host_device_scalarIT3_EEPKiS7_PKS4_iiS9_lS5_PS4_l21rocsparse_index_base_b.has_recursion, 0
	.set _ZN9rocsparseL29gebsrmm_small_blockdim_kernelILi3ELi4ELi4ELi16EfEEv20rocsparse_direction_20rocsparse_operation_iiNS_24const_host_device_scalarIT3_EEPKiS7_PKS4_iiS9_lS5_PS4_l21rocsparse_index_base_b.has_indirect_call, 0
	.section	.AMDGPU.csdata,"",@progbits
; Kernel info:
; codeLenInByte = 972
; TotalNumSgprs: 30
; NumVgprs: 22
; ScratchSize: 0
; MemoryBound: 0
; FloatMode: 240
; IeeeMode: 1
; LDSByteSize: 320 bytes/workgroup (compile time only)
; SGPRBlocks: 0
; VGPRBlocks: 1
; NumSGPRsForWavesPerEU: 30
; NumVGPRsForWavesPerEU: 22
; NamedBarCnt: 0
; Occupancy: 16
; WaveLimiterHint : 1
; COMPUTE_PGM_RSRC2:SCRATCH_EN: 0
; COMPUTE_PGM_RSRC2:USER_SGPR: 2
; COMPUTE_PGM_RSRC2:TRAP_HANDLER: 0
; COMPUTE_PGM_RSRC2:TGID_X_EN: 1
; COMPUTE_PGM_RSRC2:TGID_Y_EN: 1
; COMPUTE_PGM_RSRC2:TGID_Z_EN: 0
; COMPUTE_PGM_RSRC2:TIDIG_COMP_CNT: 1
	.section	.text._ZN9rocsparseL29gebsrmm_small_blockdim_kernelILi4ELi1ELi4ELi16EfEEv20rocsparse_direction_20rocsparse_operation_iiNS_24const_host_device_scalarIT3_EEPKiS7_PKS4_iiS9_lS5_PS4_l21rocsparse_index_base_b,"axG",@progbits,_ZN9rocsparseL29gebsrmm_small_blockdim_kernelILi4ELi1ELi4ELi16EfEEv20rocsparse_direction_20rocsparse_operation_iiNS_24const_host_device_scalarIT3_EEPKiS7_PKS4_iiS9_lS5_PS4_l21rocsparse_index_base_b,comdat
	.globl	_ZN9rocsparseL29gebsrmm_small_blockdim_kernelILi4ELi1ELi4ELi16EfEEv20rocsparse_direction_20rocsparse_operation_iiNS_24const_host_device_scalarIT3_EEPKiS7_PKS4_iiS9_lS5_PS4_l21rocsparse_index_base_b ; -- Begin function _ZN9rocsparseL29gebsrmm_small_blockdim_kernelILi4ELi1ELi4ELi16EfEEv20rocsparse_direction_20rocsparse_operation_iiNS_24const_host_device_scalarIT3_EEPKiS7_PKS4_iiS9_lS5_PS4_l21rocsparse_index_base_b
	.p2align	8
	.type	_ZN9rocsparseL29gebsrmm_small_blockdim_kernelILi4ELi1ELi4ELi16EfEEv20rocsparse_direction_20rocsparse_operation_iiNS_24const_host_device_scalarIT3_EEPKiS7_PKS4_iiS9_lS5_PS4_l21rocsparse_index_base_b,@function
_ZN9rocsparseL29gebsrmm_small_blockdim_kernelILi4ELi1ELi4ELi16EfEEv20rocsparse_direction_20rocsparse_operation_iiNS_24const_host_device_scalarIT3_EEPKiS7_PKS4_iiS9_lS5_PS4_l21rocsparse_index_base_b: ; @_ZN9rocsparseL29gebsrmm_small_blockdim_kernelILi4ELi1ELi4ELi16EfEEv20rocsparse_direction_20rocsparse_operation_iiNS_24const_host_device_scalarIT3_EEPKiS7_PKS4_iiS9_lS5_PS4_l21rocsparse_index_base_b
; %bb.0:
	s_clause 0x2
	s_load_b64 s[20:21], s[0:1], 0x60
	s_load_b64 s[6:7], s[0:1], 0x10
	s_load_b128 s[8:11], s[0:1], 0x40
	s_wait_kmcnt 0x0
	s_bitcmp1_b32 s21, 0
	s_cselect_b32 s2, -1, 0
	s_delay_alu instid0(SALU_CYCLE_1)
	s_and_b32 vcc_lo, exec_lo, s2
	s_xor_b32 s2, s2, -1
	s_cbranch_vccnz .LBB9_2
; %bb.1:
	s_load_b32 s6, s[6:7], 0x0
.LBB9_2:
	s_and_not1_b32 vcc_lo, exec_lo, s2
	s_cbranch_vccnz .LBB9_4
; %bb.3:
	s_load_b32 s10, s[10:11], 0x0
.LBB9_4:
	s_wait_kmcnt 0x0
	s_cmp_eq_f32 s6, 0
	s_mov_b32 s24, 0
	s_cselect_b32 s2, -1, 0
	s_cmp_eq_f32 s10, 1.0
	s_cselect_b32 s3, -1, 0
	s_delay_alu instid0(SALU_CYCLE_1) | instskip(NEXT) | instid1(SALU_CYCLE_1)
	s_and_b32 s2, s2, s3
	s_and_b32 vcc_lo, exec_lo, s2
	s_cbranch_vccnz .LBB9_21
; %bb.5:
	s_load_b96 s[16:18], s[0:1], 0x4
	s_bfe_u32 s2, ttmp6, 0x4000c
	s_and_b32 s3, ttmp6, 15
	s_add_co_i32 s2, s2, 1
	s_mov_b32 s11, 0
	s_mul_i32 s4, ttmp9, s2
	s_getreg_b32 s2, hwreg(HW_REG_IB_STS2, 6, 4)
	s_add_co_i32 s3, s3, s4
	s_cmp_eq_u32 s2, 0
	s_cselect_b32 s22, ttmp9, s3
	s_wait_kmcnt 0x0
	s_cmp_lt_i32 s22, s17
	s_cselect_b32 s7, -1, 0
	s_cmp_ge_i32 s22, s17
	s_cbranch_scc1 .LBB9_7
; %bb.6:
	s_load_b64 s[4:5], s[0:1], 0x18
	s_ashr_i32 s23, s22, 31
	s_delay_alu instid0(SALU_CYCLE_1)
	s_lshl_b64 s[12:13], s[22:23], 2
	s_wait_kmcnt 0x0
	s_add_nc_u64 s[4:5], s[4:5], s[12:13]
	s_load_b64 s[12:13], s[4:5], 0x0
	s_wait_kmcnt 0x0
	s_sub_co_i32 s24, s12, s20
	s_sub_co_i32 s11, s13, s20
.LBB9_7:
	s_bfe_u32 s3, ttmp6, 0x40010
	s_bfe_u32 s4, ttmp6, 0x40004
	s_add_co_i32 s3, s3, 1
	v_bfe_u32 v2, v0, 10, 10
	s_mul_i32 s3, ttmp7, s3
	v_and_b32_e32 v6, 0x3ff, v0
	s_add_co_i32 s4, s4, s3
	s_cmp_eq_u32 s2, 0
	v_mov_b32_e32 v7, 0
	s_cselect_b32 s2, ttmp7, s4
	s_cmp_ge_i32 s24, s11
	v_lshl_add_u32 v0, s2, 4, v2
	v_cmp_gt_u32_e64 s2, 4, v6
	s_delay_alu instid0(VALU_DEP_2)
	v_ashrrev_i32_e32 v1, 31, v0
	v_cmp_gt_i32_e64 s3, s18, v0
	s_cbranch_scc1 .LBB9_17
; %bb.8:
	v_mul_u64_e32 v[4:5], s[8:9], v[0:1]
	s_clause 0x1
	s_load_b64 s[26:27], s[0:1], 0x38
	s_load_b128 s[12:15], s[0:1], 0x20
	v_dual_lshlrev_b32 v3, 2, v2 :: v_dual_lshlrev_b32 v9, 4, v2
	v_cmp_eq_u32_e32 vcc_lo, 0, v6
	v_cmp_eq_u32_e64 s4, 0, v2
	v_lshl_add_u32 v8, v6, 2, 0x100
	s_delay_alu instid0(VALU_DEP_4)
	v_add_lshl_u32 v10, v3, v6, 2
	v_lshl_add_u32 v11, s24, 2, v6
	s_and_b32 s17, vcc_lo, s3
	s_and_b32 s18, s2, s4
	s_cmp_lg_u32 s16, 0x6f
	v_dual_mov_b32 v7, 0 :: v_dual_add_nc_u32 v12, 0x100, v10
	s_cselect_b32 s16, -1, 0
	s_ashr_i32 s25, s24, 31
	s_delay_alu instid0(SALU_CYCLE_1)
	s_lshl_b64 s[4:5], s[24:25], 2
	s_wait_kmcnt 0x0
	v_lshl_add_u64 v[2:3], v[0:1], 2, s[26:27]
	s_add_nc_u64 s[4:5], s[12:13], s[4:5]
	v_lshl_add_u64 v[4:5], v[4:5], 2, s[26:27]
	s_branch .LBB9_10
.LBB9_9:                                ;   in Loop: Header=BB9_10 Depth=1
	s_or_b32 exec_lo, exec_lo, s12
	s_wait_dscnt 0x0
	s_barrier_signal -1
	s_barrier_wait -1
	ds_load_b32 v13, v8
	ds_load_b32 v14, v9
	s_add_co_i32 s24, s24, 1
	s_add_nc_u64 s[4:5], s[4:5], 4
	s_cmp_ge_i32 s24, s11
	s_wait_dscnt 0x0
	s_barrier_signal -1
	s_barrier_wait -1
	v_dual_add_nc_u32 v11, 4, v11 :: v_dual_fmac_f32 v7, v13, v14
	s_cbranch_scc1 .LBB9_17
.LBB9_10:                               ; =>This Inner Loop Header: Depth=1
	v_mov_b32_e32 v13, 0
	s_and_saveexec_b32 s19, s17
	s_cbranch_execz .LBB9_15
; %bb.11:                               ;   in Loop: Header=BB9_10 Depth=1
	s_load_b32 s12, s[4:5], 0x0
	s_mov_b32 s21, -1
	s_and_b32 vcc_lo, exec_lo, s16
                                        ; implicit-def: $vgpr13
	s_wait_kmcnt 0x0
	s_sub_co_i32 s12, s12, s20
	s_delay_alu instid0(SALU_CYCLE_1)
	s_ashr_i32 s13, s12, 31
	s_cbranch_vccz .LBB9_13
; %bb.12:                               ;   in Loop: Header=BB9_10 Depth=1
	s_mul_u64 s[26:27], s[8:9], s[12:13]
	s_mov_b32 s21, 0
	v_lshl_add_u64 v[14:15], s[26:27], 2, v[2:3]
	global_load_b32 v13, v[14:15], off
.LBB9_13:                               ;   in Loop: Header=BB9_10 Depth=1
	s_and_not1_b32 vcc_lo, exec_lo, s21
	s_cbranch_vccnz .LBB9_15
; %bb.14:                               ;   in Loop: Header=BB9_10 Depth=1
	s_wait_xcnt 0x0
	v_lshl_add_u64 v[14:15], s[12:13], 2, v[4:5]
	s_wait_loadcnt 0x0
	global_load_b32 v13, v[14:15], off
.LBB9_15:                               ;   in Loop: Header=BB9_10 Depth=1
	s_wait_xcnt 0x0
	s_or_b32 exec_lo, exec_lo, s19
	s_wait_loadcnt 0x0
	ds_store_b32 v10, v13
	s_and_saveexec_b32 s12, s18
	s_cbranch_execz .LBB9_9
; %bb.16:                               ;   in Loop: Header=BB9_10 Depth=1
	global_load_b32 v13, v11, s[14:15] scale_offset
	s_wait_loadcnt 0x0
	ds_store_b32 v12, v13
	s_branch .LBB9_9
.LBB9_17:
	s_load_b64 s[4:5], s[0:1], 0x50
	s_and_b32 s3, s7, s3
	s_delay_alu instid0(SALU_CYCLE_1) | instskip(NEXT) | instid1(SALU_CYCLE_1)
	s_and_b32 s2, s3, s2
	s_and_saveexec_b32 s3, s2
	s_cbranch_execz .LBB9_21
; %bb.18:
	s_wait_xcnt 0x0
	s_load_b64 s[0:1], s[0:1], 0x58
	s_cmp_neq_f32 s10, 0
	v_mul_f32_e32 v4, s6, v7
	s_wait_kmcnt 0x0
	v_mul_u64_e32 v[2:3], s[0:1], v[0:1]
	v_lshl_add_u32 v0, s22, 2, v6
	s_mov_b32 s0, 0
	s_delay_alu instid0(VALU_DEP_1) | instskip(NEXT) | instid1(VALU_DEP_3)
	v_ashrrev_i32_e32 v1, 31, v0
	v_lshl_add_u64 v[2:3], v[2:3], 2, s[4:5]
	s_cbranch_scc0 .LBB9_22
; %bb.19:
	s_delay_alu instid0(VALU_DEP_1)
	v_lshl_add_u64 v[6:7], v[0:1], 2, v[2:3]
	global_load_b32 v5, v[6:7], off
	s_wait_loadcnt 0x0
	v_fma_f32 v5, s10, v5, v4
	global_store_b32 v[6:7], v5, off
	s_and_not1_b32 vcc_lo, exec_lo, s0
	s_cbranch_vccnz .LBB9_21
.LBB9_20:
	s_delay_alu instid0(VALU_DEP_1)
	v_lshl_add_u64 v[0:1], v[0:1], 2, v[2:3]
	global_store_b32 v[0:1], v4, off
.LBB9_21:
	s_endpgm
.LBB9_22:
	s_branch .LBB9_20
	.section	.rodata,"a",@progbits
	.p2align	6, 0x0
	.amdhsa_kernel _ZN9rocsparseL29gebsrmm_small_blockdim_kernelILi4ELi1ELi4ELi16EfEEv20rocsparse_direction_20rocsparse_operation_iiNS_24const_host_device_scalarIT3_EEPKiS7_PKS4_iiS9_lS5_PS4_l21rocsparse_index_base_b
		.amdhsa_group_segment_fixed_size 320
		.amdhsa_private_segment_fixed_size 0
		.amdhsa_kernarg_size 104
		.amdhsa_user_sgpr_count 2
		.amdhsa_user_sgpr_dispatch_ptr 0
		.amdhsa_user_sgpr_queue_ptr 0
		.amdhsa_user_sgpr_kernarg_segment_ptr 1
		.amdhsa_user_sgpr_dispatch_id 0
		.amdhsa_user_sgpr_kernarg_preload_length 0
		.amdhsa_user_sgpr_kernarg_preload_offset 0
		.amdhsa_user_sgpr_private_segment_size 0
		.amdhsa_wavefront_size32 1
		.amdhsa_uses_dynamic_stack 0
		.amdhsa_enable_private_segment 0
		.amdhsa_system_sgpr_workgroup_id_x 1
		.amdhsa_system_sgpr_workgroup_id_y 1
		.amdhsa_system_sgpr_workgroup_id_z 0
		.amdhsa_system_sgpr_workgroup_info 0
		.amdhsa_system_vgpr_workitem_id 1
		.amdhsa_next_free_vgpr 16
		.amdhsa_next_free_sgpr 28
		.amdhsa_named_barrier_count 0
		.amdhsa_reserve_vcc 1
		.amdhsa_float_round_mode_32 0
		.amdhsa_float_round_mode_16_64 0
		.amdhsa_float_denorm_mode_32 3
		.amdhsa_float_denorm_mode_16_64 3
		.amdhsa_fp16_overflow 0
		.amdhsa_memory_ordered 1
		.amdhsa_forward_progress 1
		.amdhsa_inst_pref_size 8
		.amdhsa_round_robin_scheduling 0
		.amdhsa_exception_fp_ieee_invalid_op 0
		.amdhsa_exception_fp_denorm_src 0
		.amdhsa_exception_fp_ieee_div_zero 0
		.amdhsa_exception_fp_ieee_overflow 0
		.amdhsa_exception_fp_ieee_underflow 0
		.amdhsa_exception_fp_ieee_inexact 0
		.amdhsa_exception_int_div_zero 0
	.end_amdhsa_kernel
	.section	.text._ZN9rocsparseL29gebsrmm_small_blockdim_kernelILi4ELi1ELi4ELi16EfEEv20rocsparse_direction_20rocsparse_operation_iiNS_24const_host_device_scalarIT3_EEPKiS7_PKS4_iiS9_lS5_PS4_l21rocsparse_index_base_b,"axG",@progbits,_ZN9rocsparseL29gebsrmm_small_blockdim_kernelILi4ELi1ELi4ELi16EfEEv20rocsparse_direction_20rocsparse_operation_iiNS_24const_host_device_scalarIT3_EEPKiS7_PKS4_iiS9_lS5_PS4_l21rocsparse_index_base_b,comdat
.Lfunc_end9:
	.size	_ZN9rocsparseL29gebsrmm_small_blockdim_kernelILi4ELi1ELi4ELi16EfEEv20rocsparse_direction_20rocsparse_operation_iiNS_24const_host_device_scalarIT3_EEPKiS7_PKS4_iiS9_lS5_PS4_l21rocsparse_index_base_b, .Lfunc_end9-_ZN9rocsparseL29gebsrmm_small_blockdim_kernelILi4ELi1ELi4ELi16EfEEv20rocsparse_direction_20rocsparse_operation_iiNS_24const_host_device_scalarIT3_EEPKiS7_PKS4_iiS9_lS5_PS4_l21rocsparse_index_base_b
                                        ; -- End function
	.set _ZN9rocsparseL29gebsrmm_small_blockdim_kernelILi4ELi1ELi4ELi16EfEEv20rocsparse_direction_20rocsparse_operation_iiNS_24const_host_device_scalarIT3_EEPKiS7_PKS4_iiS9_lS5_PS4_l21rocsparse_index_base_b.num_vgpr, 16
	.set _ZN9rocsparseL29gebsrmm_small_blockdim_kernelILi4ELi1ELi4ELi16EfEEv20rocsparse_direction_20rocsparse_operation_iiNS_24const_host_device_scalarIT3_EEPKiS7_PKS4_iiS9_lS5_PS4_l21rocsparse_index_base_b.num_agpr, 0
	.set _ZN9rocsparseL29gebsrmm_small_blockdim_kernelILi4ELi1ELi4ELi16EfEEv20rocsparse_direction_20rocsparse_operation_iiNS_24const_host_device_scalarIT3_EEPKiS7_PKS4_iiS9_lS5_PS4_l21rocsparse_index_base_b.numbered_sgpr, 28
	.set _ZN9rocsparseL29gebsrmm_small_blockdim_kernelILi4ELi1ELi4ELi16EfEEv20rocsparse_direction_20rocsparse_operation_iiNS_24const_host_device_scalarIT3_EEPKiS7_PKS4_iiS9_lS5_PS4_l21rocsparse_index_base_b.num_named_barrier, 0
	.set _ZN9rocsparseL29gebsrmm_small_blockdim_kernelILi4ELi1ELi4ELi16EfEEv20rocsparse_direction_20rocsparse_operation_iiNS_24const_host_device_scalarIT3_EEPKiS7_PKS4_iiS9_lS5_PS4_l21rocsparse_index_base_b.private_seg_size, 0
	.set _ZN9rocsparseL29gebsrmm_small_blockdim_kernelILi4ELi1ELi4ELi16EfEEv20rocsparse_direction_20rocsparse_operation_iiNS_24const_host_device_scalarIT3_EEPKiS7_PKS4_iiS9_lS5_PS4_l21rocsparse_index_base_b.uses_vcc, 1
	.set _ZN9rocsparseL29gebsrmm_small_blockdim_kernelILi4ELi1ELi4ELi16EfEEv20rocsparse_direction_20rocsparse_operation_iiNS_24const_host_device_scalarIT3_EEPKiS7_PKS4_iiS9_lS5_PS4_l21rocsparse_index_base_b.uses_flat_scratch, 0
	.set _ZN9rocsparseL29gebsrmm_small_blockdim_kernelILi4ELi1ELi4ELi16EfEEv20rocsparse_direction_20rocsparse_operation_iiNS_24const_host_device_scalarIT3_EEPKiS7_PKS4_iiS9_lS5_PS4_l21rocsparse_index_base_b.has_dyn_sized_stack, 0
	.set _ZN9rocsparseL29gebsrmm_small_blockdim_kernelILi4ELi1ELi4ELi16EfEEv20rocsparse_direction_20rocsparse_operation_iiNS_24const_host_device_scalarIT3_EEPKiS7_PKS4_iiS9_lS5_PS4_l21rocsparse_index_base_b.has_recursion, 0
	.set _ZN9rocsparseL29gebsrmm_small_blockdim_kernelILi4ELi1ELi4ELi16EfEEv20rocsparse_direction_20rocsparse_operation_iiNS_24const_host_device_scalarIT3_EEPKiS7_PKS4_iiS9_lS5_PS4_l21rocsparse_index_base_b.has_indirect_call, 0
	.section	.AMDGPU.csdata,"",@progbits
; Kernel info:
; codeLenInByte = 900
; TotalNumSgprs: 30
; NumVgprs: 16
; ScratchSize: 0
; MemoryBound: 0
; FloatMode: 240
; IeeeMode: 1
; LDSByteSize: 320 bytes/workgroup (compile time only)
; SGPRBlocks: 0
; VGPRBlocks: 0
; NumSGPRsForWavesPerEU: 30
; NumVGPRsForWavesPerEU: 16
; NamedBarCnt: 0
; Occupancy: 16
; WaveLimiterHint : 1
; COMPUTE_PGM_RSRC2:SCRATCH_EN: 0
; COMPUTE_PGM_RSRC2:USER_SGPR: 2
; COMPUTE_PGM_RSRC2:TRAP_HANDLER: 0
; COMPUTE_PGM_RSRC2:TGID_X_EN: 1
; COMPUTE_PGM_RSRC2:TGID_Y_EN: 1
; COMPUTE_PGM_RSRC2:TGID_Z_EN: 0
; COMPUTE_PGM_RSRC2:TIDIG_COMP_CNT: 1
	.section	.text._ZN9rocsparseL29gebsrmm_small_blockdim_kernelILi4ELi2ELi4ELi16EfEEv20rocsparse_direction_20rocsparse_operation_iiNS_24const_host_device_scalarIT3_EEPKiS7_PKS4_iiS9_lS5_PS4_l21rocsparse_index_base_b,"axG",@progbits,_ZN9rocsparseL29gebsrmm_small_blockdim_kernelILi4ELi2ELi4ELi16EfEEv20rocsparse_direction_20rocsparse_operation_iiNS_24const_host_device_scalarIT3_EEPKiS7_PKS4_iiS9_lS5_PS4_l21rocsparse_index_base_b,comdat
	.globl	_ZN9rocsparseL29gebsrmm_small_blockdim_kernelILi4ELi2ELi4ELi16EfEEv20rocsparse_direction_20rocsparse_operation_iiNS_24const_host_device_scalarIT3_EEPKiS7_PKS4_iiS9_lS5_PS4_l21rocsparse_index_base_b ; -- Begin function _ZN9rocsparseL29gebsrmm_small_blockdim_kernelILi4ELi2ELi4ELi16EfEEv20rocsparse_direction_20rocsparse_operation_iiNS_24const_host_device_scalarIT3_EEPKiS7_PKS4_iiS9_lS5_PS4_l21rocsparse_index_base_b
	.p2align	8
	.type	_ZN9rocsparseL29gebsrmm_small_blockdim_kernelILi4ELi2ELi4ELi16EfEEv20rocsparse_direction_20rocsparse_operation_iiNS_24const_host_device_scalarIT3_EEPKiS7_PKS4_iiS9_lS5_PS4_l21rocsparse_index_base_b,@function
_ZN9rocsparseL29gebsrmm_small_blockdim_kernelILi4ELi2ELi4ELi16EfEEv20rocsparse_direction_20rocsparse_operation_iiNS_24const_host_device_scalarIT3_EEPKiS7_PKS4_iiS9_lS5_PS4_l21rocsparse_index_base_b: ; @_ZN9rocsparseL29gebsrmm_small_blockdim_kernelILi4ELi2ELi4ELi16EfEEv20rocsparse_direction_20rocsparse_operation_iiNS_24const_host_device_scalarIT3_EEPKiS7_PKS4_iiS9_lS5_PS4_l21rocsparse_index_base_b
; %bb.0:
	s_clause 0x2
	s_load_b64 s[20:21], s[0:1], 0x60
	s_load_b64 s[6:7], s[0:1], 0x10
	s_load_b128 s[8:11], s[0:1], 0x40
	s_wait_kmcnt 0x0
	s_bitcmp1_b32 s21, 0
	s_cselect_b32 s2, -1, 0
	s_delay_alu instid0(SALU_CYCLE_1)
	s_and_b32 vcc_lo, exec_lo, s2
	s_xor_b32 s2, s2, -1
	s_cbranch_vccnz .LBB10_2
; %bb.1:
	s_load_b32 s6, s[6:7], 0x0
.LBB10_2:
	s_and_not1_b32 vcc_lo, exec_lo, s2
	s_cbranch_vccnz .LBB10_4
; %bb.3:
	s_load_b32 s10, s[10:11], 0x0
.LBB10_4:
	s_wait_kmcnt 0x0
	s_cmp_eq_f32 s6, 0
	s_mov_b32 s24, 0
	s_cselect_b32 s2, -1, 0
	s_cmp_eq_f32 s10, 1.0
	s_cselect_b32 s3, -1, 0
	s_delay_alu instid0(SALU_CYCLE_1) | instskip(NEXT) | instid1(SALU_CYCLE_1)
	s_and_b32 s2, s2, s3
	s_and_b32 vcc_lo, exec_lo, s2
	s_cbranch_vccnz .LBB10_21
; %bb.5:
	s_load_b128 s[16:19], s[0:1], 0x0
	s_bfe_u32 s2, ttmp6, 0x4000c
	s_and_b32 s3, ttmp6, 15
	s_add_co_i32 s2, s2, 1
	s_mov_b32 s11, 0
	s_mul_i32 s4, ttmp9, s2
	s_getreg_b32 s2, hwreg(HW_REG_IB_STS2, 6, 4)
	s_add_co_i32 s3, s3, s4
	s_cmp_eq_u32 s2, 0
	s_cselect_b32 s22, ttmp9, s3
	s_wait_kmcnt 0x0
	s_cmp_lt_i32 s22, s18
	s_cselect_b32 s7, -1, 0
	s_cmp_ge_i32 s22, s18
	s_cbranch_scc1 .LBB10_7
; %bb.6:
	s_load_b64 s[4:5], s[0:1], 0x18
	s_ashr_i32 s23, s22, 31
	s_delay_alu instid0(SALU_CYCLE_1)
	s_lshl_b64 s[12:13], s[22:23], 2
	s_wait_kmcnt 0x0
	s_add_nc_u64 s[4:5], s[4:5], s[12:13]
	s_load_b64 s[12:13], s[4:5], 0x0
	s_wait_kmcnt 0x0
	s_sub_co_i32 s24, s12, s20
	s_sub_co_i32 s11, s13, s20
.LBB10_7:
	s_bfe_u32 s3, ttmp6, 0x40010
	s_bfe_u32 s4, ttmp6, 0x40004
	s_add_co_i32 s3, s3, 1
	v_bfe_u32 v12, v0, 10, 10
	s_mul_i32 s3, ttmp7, s3
	v_and_b32_e32 v8, 0x3ff, v0
	s_add_co_i32 s4, s4, s3
	s_cmp_eq_u32 s2, 0
	v_mov_b32_e32 v3, 0
	s_cselect_b32 s2, ttmp7, s4
	s_cmp_ge_i32 s24, s11
	v_lshl_add_u32 v0, s2, 4, v12
	v_cmp_gt_u32_e64 s2, 4, v8
	s_delay_alu instid0(VALU_DEP_2)
	v_ashrrev_i32_e32 v1, 31, v0
	v_cmp_gt_i32_e64 s3, s19, v0
	s_cbranch_scc1 .LBB10_17
; %bb.8:
	v_mul_u64_e32 v[4:5], s[8:9], v[0:1]
	s_clause 0x1
	s_load_b64 s[26:27], s[0:1], 0x38
	s_load_b128 s[12:15], s[0:1], 0x20
	v_cmp_gt_u32_e32 vcc_lo, 2, v8
	v_cmp_gt_u32_e64 s4, 2, v12
	v_lshl_add_u32 v13, v12, 2, v8
	v_lshl_add_u32 v14, v8, 1, v12
	v_dual_mov_b32 v3, 0 :: v_dual_lshlrev_b32 v2, 2, v8
	s_and_b32 s18, s3, vcc_lo
	s_and_b32 s19, s2, s4
	s_cmp_lg_u32 s17, 0x6f
	s_delay_alu instid0(VALU_DEP_1) | instskip(SKIP_3) | instid1(SALU_CYCLE_1)
	v_add_nc_u32_e32 v10, 0x100, v2
	s_cselect_b32 s17, -1, 0
	s_cmp_eq_u32 s16, 0
	s_cselect_b32 vcc_lo, -1, 0
	v_dual_lshlrev_b32 v9, 2, v13 :: v_dual_cndmask_b32 v13, v13, v14, vcc_lo
	s_ashr_i32 s25, s24, 31
	s_delay_alu instid0(SALU_CYCLE_1) | instskip(NEXT) | instid1(VALU_DEP_1)
	s_lshl_b64 s[4:5], s[24:25], 2
	v_add_nc_u32_e32 v11, 0x100, v9
	s_wait_kmcnt 0x0
	s_add_nc_u64 s[4:5], s[12:13], s[4:5]
	v_lshl_add_u64 v[6:7], v[4:5], 2, s[26:27]
	v_lshl_add_u64 v[4:5], v[0:1], 2, s[26:27]
	s_delay_alu instid0(VALU_DEP_2)
	v_add_nc_u64_e32 v[6:7], v[6:7], v[2:3]
	v_lshlrev_b32_e32 v2, 4, v12
	v_lshl_add_u32 v12, s24, 3, v13
	s_branch .LBB10_10
.LBB10_9:                               ;   in Loop: Header=BB10_10 Depth=1
	s_or_b32 exec_lo, exec_lo, s12
	s_wait_dscnt 0x0
	s_barrier_signal -1
	s_barrier_wait -1
	ds_load_b64 v[14:15], v2
	ds_load_2addr_b32 v[16:17], v10 offset1:4
	s_add_co_i32 s24, s24, 1
	s_add_nc_u64 s[4:5], s[4:5], 4
	s_cmp_ge_i32 s24, s11
	s_wait_dscnt 0x0
	s_barrier_signal -1
	s_barrier_wait -1
	v_dual_fmac_f32 v3, v16, v14 :: v_dual_add_nc_u32 v12, 8, v12
	s_delay_alu instid0(VALU_DEP_1)
	v_fmac_f32_e32 v3, v17, v15
	s_cbranch_scc1 .LBB10_17
.LBB10_10:                              ; =>This Inner Loop Header: Depth=1
	v_mov_b32_e32 v13, 0
	s_and_saveexec_b32 s16, s18
	s_cbranch_execz .LBB10_15
; %bb.11:                               ;   in Loop: Header=BB10_10 Depth=1
	s_load_b32 s12, s[4:5], 0x0
	s_mov_b32 s13, -1
	s_and_b32 vcc_lo, exec_lo, s17
                                        ; implicit-def: $vgpr13
	s_wait_kmcnt 0x0
	s_sub_co_i32 s12, s12, s20
	s_delay_alu instid0(SALU_CYCLE_1)
	s_lshl_b32 s12, s12, 1
	s_cbranch_vccz .LBB10_13
; %bb.12:                               ;   in Loop: Header=BB10_10 Depth=1
	v_or_b32_e32 v14, s12, v8
	s_mov_b32 s13, 0
	s_delay_alu instid0(VALU_DEP_1) | instskip(NEXT) | instid1(VALU_DEP_1)
	v_ashrrev_i32_e32 v15, 31, v14
	v_mul_u64_e32 v[14:15], s[8:9], v[14:15]
	s_delay_alu instid0(VALU_DEP_1)
	v_lshl_add_u64 v[14:15], v[14:15], 2, v[4:5]
	global_load_b32 v13, v[14:15], off
.LBB10_13:                              ;   in Loop: Header=BB10_10 Depth=1
	s_and_not1_b32 vcc_lo, exec_lo, s13
	s_cbranch_vccnz .LBB10_15
; %bb.14:                               ;   in Loop: Header=BB10_10 Depth=1
	s_ashr_i32 s13, s12, 31
	s_wait_xcnt 0x0
	v_lshl_add_u64 v[14:15], s[12:13], 2, v[6:7]
	s_wait_loadcnt 0x0
	global_load_b32 v13, v[14:15], off
.LBB10_15:                              ;   in Loop: Header=BB10_10 Depth=1
	s_wait_xcnt 0x0
	s_or_b32 exec_lo, exec_lo, s16
	s_wait_loadcnt 0x0
	ds_store_b32 v9, v13
	s_and_saveexec_b32 s12, s19
	s_cbranch_execz .LBB10_9
; %bb.16:                               ;   in Loop: Header=BB10_10 Depth=1
	global_load_b32 v13, v12, s[14:15] scale_offset
	s_wait_loadcnt 0x0
	ds_store_b32 v11, v13
	s_branch .LBB10_9
.LBB10_17:
	s_load_b64 s[4:5], s[0:1], 0x50
	s_and_b32 s3, s7, s3
	s_delay_alu instid0(SALU_CYCLE_1) | instskip(NEXT) | instid1(SALU_CYCLE_1)
	s_and_b32 s2, s3, s2
	s_and_saveexec_b32 s3, s2
	s_cbranch_execz .LBB10_21
; %bb.18:
	s_wait_xcnt 0x0
	s_load_b64 s[0:1], s[0:1], 0x58
	s_cmp_neq_f32 s10, 0
	v_mul_f32_e32 v4, s6, v3
	s_wait_kmcnt 0x0
	v_mul_u64_e32 v[6:7], s[0:1], v[0:1]
	v_lshl_add_u32 v0, s22, 2, v8
	s_mov_b32 s0, 0
	s_delay_alu instid0(VALU_DEP_1) | instskip(NEXT) | instid1(VALU_DEP_3)
	v_ashrrev_i32_e32 v1, 31, v0
	v_lshl_add_u64 v[2:3], v[6:7], 2, s[4:5]
	s_cbranch_scc0 .LBB10_22
; %bb.19:
	s_delay_alu instid0(VALU_DEP_1)
	v_lshl_add_u64 v[6:7], v[0:1], 2, v[2:3]
	global_load_b32 v5, v[6:7], off
	s_wait_loadcnt 0x0
	v_fma_f32 v5, s10, v5, v4
	global_store_b32 v[6:7], v5, off
	s_and_not1_b32 vcc_lo, exec_lo, s0
	s_cbranch_vccnz .LBB10_21
.LBB10_20:
	s_delay_alu instid0(VALU_DEP_1)
	v_lshl_add_u64 v[0:1], v[0:1], 2, v[2:3]
	global_store_b32 v[0:1], v4, off
.LBB10_21:
	s_endpgm
.LBB10_22:
	s_branch .LBB10_20
	.section	.rodata,"a",@progbits
	.p2align	6, 0x0
	.amdhsa_kernel _ZN9rocsparseL29gebsrmm_small_blockdim_kernelILi4ELi2ELi4ELi16EfEEv20rocsparse_direction_20rocsparse_operation_iiNS_24const_host_device_scalarIT3_EEPKiS7_PKS4_iiS9_lS5_PS4_l21rocsparse_index_base_b
		.amdhsa_group_segment_fixed_size 320
		.amdhsa_private_segment_fixed_size 0
		.amdhsa_kernarg_size 104
		.amdhsa_user_sgpr_count 2
		.amdhsa_user_sgpr_dispatch_ptr 0
		.amdhsa_user_sgpr_queue_ptr 0
		.amdhsa_user_sgpr_kernarg_segment_ptr 1
		.amdhsa_user_sgpr_dispatch_id 0
		.amdhsa_user_sgpr_kernarg_preload_length 0
		.amdhsa_user_sgpr_kernarg_preload_offset 0
		.amdhsa_user_sgpr_private_segment_size 0
		.amdhsa_wavefront_size32 1
		.amdhsa_uses_dynamic_stack 0
		.amdhsa_enable_private_segment 0
		.amdhsa_system_sgpr_workgroup_id_x 1
		.amdhsa_system_sgpr_workgroup_id_y 1
		.amdhsa_system_sgpr_workgroup_id_z 0
		.amdhsa_system_sgpr_workgroup_info 0
		.amdhsa_system_vgpr_workitem_id 1
		.amdhsa_next_free_vgpr 18
		.amdhsa_next_free_sgpr 28
		.amdhsa_named_barrier_count 0
		.amdhsa_reserve_vcc 1
		.amdhsa_float_round_mode_32 0
		.amdhsa_float_round_mode_16_64 0
		.amdhsa_float_denorm_mode_32 3
		.amdhsa_float_denorm_mode_16_64 3
		.amdhsa_fp16_overflow 0
		.amdhsa_memory_ordered 1
		.amdhsa_forward_progress 1
		.amdhsa_inst_pref_size 8
		.amdhsa_round_robin_scheduling 0
		.amdhsa_exception_fp_ieee_invalid_op 0
		.amdhsa_exception_fp_denorm_src 0
		.amdhsa_exception_fp_ieee_div_zero 0
		.amdhsa_exception_fp_ieee_overflow 0
		.amdhsa_exception_fp_ieee_underflow 0
		.amdhsa_exception_fp_ieee_inexact 0
		.amdhsa_exception_int_div_zero 0
	.end_amdhsa_kernel
	.section	.text._ZN9rocsparseL29gebsrmm_small_blockdim_kernelILi4ELi2ELi4ELi16EfEEv20rocsparse_direction_20rocsparse_operation_iiNS_24const_host_device_scalarIT3_EEPKiS7_PKS4_iiS9_lS5_PS4_l21rocsparse_index_base_b,"axG",@progbits,_ZN9rocsparseL29gebsrmm_small_blockdim_kernelILi4ELi2ELi4ELi16EfEEv20rocsparse_direction_20rocsparse_operation_iiNS_24const_host_device_scalarIT3_EEPKiS7_PKS4_iiS9_lS5_PS4_l21rocsparse_index_base_b,comdat
.Lfunc_end10:
	.size	_ZN9rocsparseL29gebsrmm_small_blockdim_kernelILi4ELi2ELi4ELi16EfEEv20rocsparse_direction_20rocsparse_operation_iiNS_24const_host_device_scalarIT3_EEPKiS7_PKS4_iiS9_lS5_PS4_l21rocsparse_index_base_b, .Lfunc_end10-_ZN9rocsparseL29gebsrmm_small_blockdim_kernelILi4ELi2ELi4ELi16EfEEv20rocsparse_direction_20rocsparse_operation_iiNS_24const_host_device_scalarIT3_EEPKiS7_PKS4_iiS9_lS5_PS4_l21rocsparse_index_base_b
                                        ; -- End function
	.set _ZN9rocsparseL29gebsrmm_small_blockdim_kernelILi4ELi2ELi4ELi16EfEEv20rocsparse_direction_20rocsparse_operation_iiNS_24const_host_device_scalarIT3_EEPKiS7_PKS4_iiS9_lS5_PS4_l21rocsparse_index_base_b.num_vgpr, 18
	.set _ZN9rocsparseL29gebsrmm_small_blockdim_kernelILi4ELi2ELi4ELi16EfEEv20rocsparse_direction_20rocsparse_operation_iiNS_24const_host_device_scalarIT3_EEPKiS7_PKS4_iiS9_lS5_PS4_l21rocsparse_index_base_b.num_agpr, 0
	.set _ZN9rocsparseL29gebsrmm_small_blockdim_kernelILi4ELi2ELi4ELi16EfEEv20rocsparse_direction_20rocsparse_operation_iiNS_24const_host_device_scalarIT3_EEPKiS7_PKS4_iiS9_lS5_PS4_l21rocsparse_index_base_b.numbered_sgpr, 28
	.set _ZN9rocsparseL29gebsrmm_small_blockdim_kernelILi4ELi2ELi4ELi16EfEEv20rocsparse_direction_20rocsparse_operation_iiNS_24const_host_device_scalarIT3_EEPKiS7_PKS4_iiS9_lS5_PS4_l21rocsparse_index_base_b.num_named_barrier, 0
	.set _ZN9rocsparseL29gebsrmm_small_blockdim_kernelILi4ELi2ELi4ELi16EfEEv20rocsparse_direction_20rocsparse_operation_iiNS_24const_host_device_scalarIT3_EEPKiS7_PKS4_iiS9_lS5_PS4_l21rocsparse_index_base_b.private_seg_size, 0
	.set _ZN9rocsparseL29gebsrmm_small_blockdim_kernelILi4ELi2ELi4ELi16EfEEv20rocsparse_direction_20rocsparse_operation_iiNS_24const_host_device_scalarIT3_EEPKiS7_PKS4_iiS9_lS5_PS4_l21rocsparse_index_base_b.uses_vcc, 1
	.set _ZN9rocsparseL29gebsrmm_small_blockdim_kernelILi4ELi2ELi4ELi16EfEEv20rocsparse_direction_20rocsparse_operation_iiNS_24const_host_device_scalarIT3_EEPKiS7_PKS4_iiS9_lS5_PS4_l21rocsparse_index_base_b.uses_flat_scratch, 0
	.set _ZN9rocsparseL29gebsrmm_small_blockdim_kernelILi4ELi2ELi4ELi16EfEEv20rocsparse_direction_20rocsparse_operation_iiNS_24const_host_device_scalarIT3_EEPKiS7_PKS4_iiS9_lS5_PS4_l21rocsparse_index_base_b.has_dyn_sized_stack, 0
	.set _ZN9rocsparseL29gebsrmm_small_blockdim_kernelILi4ELi2ELi4ELi16EfEEv20rocsparse_direction_20rocsparse_operation_iiNS_24const_host_device_scalarIT3_EEPKiS7_PKS4_iiS9_lS5_PS4_l21rocsparse_index_base_b.has_recursion, 0
	.set _ZN9rocsparseL29gebsrmm_small_blockdim_kernelILi4ELi2ELi4ELi16EfEEv20rocsparse_direction_20rocsparse_operation_iiNS_24const_host_device_scalarIT3_EEPKiS7_PKS4_iiS9_lS5_PS4_l21rocsparse_index_base_b.has_indirect_call, 0
	.section	.AMDGPU.csdata,"",@progbits
; Kernel info:
; codeLenInByte = 952
; TotalNumSgprs: 30
; NumVgprs: 18
; ScratchSize: 0
; MemoryBound: 0
; FloatMode: 240
; IeeeMode: 1
; LDSByteSize: 320 bytes/workgroup (compile time only)
; SGPRBlocks: 0
; VGPRBlocks: 1
; NumSGPRsForWavesPerEU: 30
; NumVGPRsForWavesPerEU: 18
; NamedBarCnt: 0
; Occupancy: 16
; WaveLimiterHint : 1
; COMPUTE_PGM_RSRC2:SCRATCH_EN: 0
; COMPUTE_PGM_RSRC2:USER_SGPR: 2
; COMPUTE_PGM_RSRC2:TRAP_HANDLER: 0
; COMPUTE_PGM_RSRC2:TGID_X_EN: 1
; COMPUTE_PGM_RSRC2:TGID_Y_EN: 1
; COMPUTE_PGM_RSRC2:TGID_Z_EN: 0
; COMPUTE_PGM_RSRC2:TIDIG_COMP_CNT: 1
	.section	.text._ZN9rocsparseL29gebsrmm_small_blockdim_kernelILi4ELi3ELi4ELi16EfEEv20rocsparse_direction_20rocsparse_operation_iiNS_24const_host_device_scalarIT3_EEPKiS7_PKS4_iiS9_lS5_PS4_l21rocsparse_index_base_b,"axG",@progbits,_ZN9rocsparseL29gebsrmm_small_blockdim_kernelILi4ELi3ELi4ELi16EfEEv20rocsparse_direction_20rocsparse_operation_iiNS_24const_host_device_scalarIT3_EEPKiS7_PKS4_iiS9_lS5_PS4_l21rocsparse_index_base_b,comdat
	.globl	_ZN9rocsparseL29gebsrmm_small_blockdim_kernelILi4ELi3ELi4ELi16EfEEv20rocsparse_direction_20rocsparse_operation_iiNS_24const_host_device_scalarIT3_EEPKiS7_PKS4_iiS9_lS5_PS4_l21rocsparse_index_base_b ; -- Begin function _ZN9rocsparseL29gebsrmm_small_blockdim_kernelILi4ELi3ELi4ELi16EfEEv20rocsparse_direction_20rocsparse_operation_iiNS_24const_host_device_scalarIT3_EEPKiS7_PKS4_iiS9_lS5_PS4_l21rocsparse_index_base_b
	.p2align	8
	.type	_ZN9rocsparseL29gebsrmm_small_blockdim_kernelILi4ELi3ELi4ELi16EfEEv20rocsparse_direction_20rocsparse_operation_iiNS_24const_host_device_scalarIT3_EEPKiS7_PKS4_iiS9_lS5_PS4_l21rocsparse_index_base_b,@function
_ZN9rocsparseL29gebsrmm_small_blockdim_kernelILi4ELi3ELi4ELi16EfEEv20rocsparse_direction_20rocsparse_operation_iiNS_24const_host_device_scalarIT3_EEPKiS7_PKS4_iiS9_lS5_PS4_l21rocsparse_index_base_b: ; @_ZN9rocsparseL29gebsrmm_small_blockdim_kernelILi4ELi3ELi4ELi16EfEEv20rocsparse_direction_20rocsparse_operation_iiNS_24const_host_device_scalarIT3_EEPKiS7_PKS4_iiS9_lS5_PS4_l21rocsparse_index_base_b
; %bb.0:
	s_clause 0x2
	s_load_b64 s[20:21], s[0:1], 0x60
	s_load_b64 s[6:7], s[0:1], 0x10
	s_load_b128 s[8:11], s[0:1], 0x40
	s_wait_kmcnt 0x0
	s_bitcmp1_b32 s21, 0
	s_cselect_b32 s2, -1, 0
	s_delay_alu instid0(SALU_CYCLE_1)
	s_and_b32 vcc_lo, exec_lo, s2
	s_xor_b32 s2, s2, -1
	s_cbranch_vccnz .LBB11_2
; %bb.1:
	s_load_b32 s6, s[6:7], 0x0
.LBB11_2:
	s_and_not1_b32 vcc_lo, exec_lo, s2
	s_cbranch_vccnz .LBB11_4
; %bb.3:
	s_load_b32 s10, s[10:11], 0x0
.LBB11_4:
	s_wait_kmcnt 0x0
	s_cmp_eq_f32 s6, 0
	s_mov_b32 s24, 0
	s_cselect_b32 s2, -1, 0
	s_cmp_eq_f32 s10, 1.0
	s_cselect_b32 s3, -1, 0
	s_delay_alu instid0(SALU_CYCLE_1) | instskip(NEXT) | instid1(SALU_CYCLE_1)
	s_and_b32 s2, s2, s3
	s_and_b32 vcc_lo, exec_lo, s2
	s_cbranch_vccnz .LBB11_21
; %bb.5:
	s_load_b128 s[16:19], s[0:1], 0x0
	s_bfe_u32 s2, ttmp6, 0x4000c
	s_and_b32 s3, ttmp6, 15
	s_add_co_i32 s2, s2, 1
	s_mov_b32 s11, 0
	s_mul_i32 s4, ttmp9, s2
	s_getreg_b32 s2, hwreg(HW_REG_IB_STS2, 6, 4)
	s_add_co_i32 s3, s3, s4
	s_cmp_eq_u32 s2, 0
	s_cselect_b32 s22, ttmp9, s3
	s_wait_kmcnt 0x0
	s_cmp_lt_i32 s22, s18
	s_cselect_b32 s7, -1, 0
	s_cmp_ge_i32 s22, s18
	s_cbranch_scc1 .LBB11_7
; %bb.6:
	s_load_b64 s[4:5], s[0:1], 0x18
	s_ashr_i32 s23, s22, 31
	s_delay_alu instid0(SALU_CYCLE_1)
	s_lshl_b64 s[12:13], s[22:23], 2
	s_wait_kmcnt 0x0
	s_add_nc_u64 s[4:5], s[4:5], s[12:13]
	s_load_b64 s[12:13], s[4:5], 0x0
	s_wait_kmcnt 0x0
	s_sub_co_i32 s24, s12, s20
	s_sub_co_i32 s11, s13, s20
.LBB11_7:
	s_bfe_u32 s3, ttmp6, 0x40010
	s_bfe_u32 s4, ttmp6, 0x40004
	s_add_co_i32 s3, s3, 1
	v_bfe_u32 v12, v0, 10, 10
	s_mul_i32 s3, ttmp7, s3
	v_and_b32_e32 v8, 0x3ff, v0
	s_add_co_i32 s4, s4, s3
	s_cmp_eq_u32 s2, 0
	v_mov_b32_e32 v3, 0
	s_cselect_b32 s2, ttmp7, s4
	s_cmp_ge_i32 s24, s11
	v_lshl_add_u32 v0, s2, 4, v12
	v_cmp_gt_u32_e64 s2, 4, v8
	s_delay_alu instid0(VALU_DEP_2)
	v_ashrrev_i32_e32 v1, 31, v0
	v_cmp_gt_i32_e64 s3, s19, v0
	s_cbranch_scc1 .LBB11_17
; %bb.8:
	v_mul_u64_e32 v[4:5], s[8:9], v[0:1]
	s_clause 0x1
	s_load_b64 s[26:27], s[0:1], 0x38
	s_load_b128 s[12:15], s[0:1], 0x20
	v_cmp_gt_u32_e32 vcc_lo, 3, v8
	v_cmp_gt_u32_e64 s4, 3, v12
	v_lshl_add_u32 v3, v12, 2, v8
	v_mad_u32_u24 v6, v8, 3, v12
	v_lshlrev_b32_e32 v12, 4, v12
	s_and_b32 s18, s3, vcc_lo
	s_and_b32 s19, s2, s4
	s_cmp_lg_u32 s17, 0x6f
	v_lshlrev_b32_e32 v9, 2, v3
	s_cselect_b32 s17, -1, 0
	s_cmp_eq_u32 s16, 0
	s_cselect_b32 vcc_lo, -1, 0
	s_delay_alu instid0(SALU_CYCLE_1)
	v_dual_lshlrev_b32 v2, 2, v8 :: v_dual_cndmask_b32 v10, v3, v6, vcc_lo
	v_mov_b32_e32 v3, 0
	s_ashr_i32 s25, s24, 31
	v_add_nc_u32_e32 v11, 0x100, v9
	s_lshl_b64 s[4:5], s[24:25], 2
	v_mad_u32 v10, s24, 12, v10
	s_wait_kmcnt 0x0
	s_add_nc_u64 s[4:5], s[12:13], s[4:5]
	v_lshl_add_u64 v[6:7], v[4:5], 2, s[26:27]
	v_lshl_add_u64 v[4:5], v[0:1], 2, s[26:27]
	s_delay_alu instid0(VALU_DEP_2)
	v_add_nc_u64_e32 v[6:7], v[6:7], v[2:3]
	v_add_nc_u32_e32 v2, 0x100, v2
	s_branch .LBB11_10
.LBB11_9:                               ;   in Loop: Header=BB11_10 Depth=1
	s_or_b32 exec_lo, exec_lo, s12
	s_wait_dscnt 0x0
	s_barrier_signal -1
	s_barrier_wait -1
	ds_load_2addr_b32 v[18:19], v2 offset1:4
	ds_load_b96 v[14:16], v12
	ds_load_b32 v13, v2 offset:32
	s_add_co_i32 s24, s24, 1
	s_add_nc_u64 s[4:5], s[4:5], 4
	s_cmp_ge_i32 s24, s11
	s_wait_dscnt 0x0
	s_barrier_signal -1
	s_barrier_wait -1
	v_add_nc_u32_e32 v10, 12, v10
	v_fmac_f32_e32 v3, v18, v14
	s_delay_alu instid0(VALU_DEP_1) | instskip(NEXT) | instid1(VALU_DEP_1)
	v_fmac_f32_e32 v3, v19, v15
	v_fmac_f32_e32 v3, v13, v16
	s_cbranch_scc1 .LBB11_17
.LBB11_10:                              ; =>This Inner Loop Header: Depth=1
	v_mov_b32_e32 v13, 0
	s_and_saveexec_b32 s16, s18
	s_cbranch_execz .LBB11_15
; %bb.11:                               ;   in Loop: Header=BB11_10 Depth=1
	s_load_b32 s12, s[4:5], 0x0
	s_mov_b32 s13, -1
	s_and_b32 vcc_lo, exec_lo, s17
                                        ; implicit-def: $vgpr13
	s_wait_kmcnt 0x0
	s_sub_co_i32 s12, s12, s20
	s_delay_alu instid0(SALU_CYCLE_1)
	s_mul_i32 s12, s12, 3
	s_cbranch_vccz .LBB11_13
; %bb.12:                               ;   in Loop: Header=BB11_10 Depth=1
	v_add_nc_u32_e32 v14, s12, v8
	s_mov_b32 s13, 0
	s_delay_alu instid0(VALU_DEP_1) | instskip(NEXT) | instid1(VALU_DEP_1)
	v_ashrrev_i32_e32 v15, 31, v14
	v_mul_u64_e32 v[14:15], s[8:9], v[14:15]
	s_delay_alu instid0(VALU_DEP_1)
	v_lshl_add_u64 v[14:15], v[14:15], 2, v[4:5]
	global_load_b32 v13, v[14:15], off
.LBB11_13:                              ;   in Loop: Header=BB11_10 Depth=1
	s_and_not1_b32 vcc_lo, exec_lo, s13
	s_cbranch_vccnz .LBB11_15
; %bb.14:                               ;   in Loop: Header=BB11_10 Depth=1
	s_ashr_i32 s13, s12, 31
	s_wait_xcnt 0x0
	v_lshl_add_u64 v[14:15], s[12:13], 2, v[6:7]
	s_wait_loadcnt 0x0
	global_load_b32 v13, v[14:15], off
.LBB11_15:                              ;   in Loop: Header=BB11_10 Depth=1
	s_wait_xcnt 0x0
	s_or_b32 exec_lo, exec_lo, s16
	s_wait_loadcnt 0x0
	ds_store_b32 v9, v13
	s_and_saveexec_b32 s12, s19
	s_cbranch_execz .LBB11_9
; %bb.16:                               ;   in Loop: Header=BB11_10 Depth=1
	global_load_b32 v13, v10, s[14:15] scale_offset
	s_wait_loadcnt 0x0
	ds_store_b32 v11, v13
	s_branch .LBB11_9
.LBB11_17:
	s_load_b64 s[4:5], s[0:1], 0x50
	s_and_b32 s3, s7, s3
	s_delay_alu instid0(SALU_CYCLE_1) | instskip(NEXT) | instid1(SALU_CYCLE_1)
	s_and_b32 s2, s3, s2
	s_and_saveexec_b32 s3, s2
	s_cbranch_execz .LBB11_21
; %bb.18:
	s_wait_xcnt 0x0
	s_load_b64 s[0:1], s[0:1], 0x58
	s_cmp_neq_f32 s10, 0
	v_mul_f32_e32 v4, s6, v3
	s_wait_kmcnt 0x0
	v_mul_u64_e32 v[6:7], s[0:1], v[0:1]
	v_lshl_add_u32 v0, s22, 2, v8
	s_mov_b32 s0, 0
	s_delay_alu instid0(VALU_DEP_1) | instskip(NEXT) | instid1(VALU_DEP_3)
	v_ashrrev_i32_e32 v1, 31, v0
	v_lshl_add_u64 v[2:3], v[6:7], 2, s[4:5]
	s_cbranch_scc0 .LBB11_22
; %bb.19:
	s_delay_alu instid0(VALU_DEP_1)
	v_lshl_add_u64 v[6:7], v[0:1], 2, v[2:3]
	global_load_b32 v5, v[6:7], off
	s_wait_loadcnt 0x0
	v_fma_f32 v5, s10, v5, v4
	global_store_b32 v[6:7], v5, off
	s_and_not1_b32 vcc_lo, exec_lo, s0
	s_cbranch_vccnz .LBB11_21
.LBB11_20:
	s_delay_alu instid0(VALU_DEP_1)
	v_lshl_add_u64 v[0:1], v[0:1], 2, v[2:3]
	global_store_b32 v[0:1], v4, off
.LBB11_21:
	s_endpgm
.LBB11_22:
	s_branch .LBB11_20
	.section	.rodata,"a",@progbits
	.p2align	6, 0x0
	.amdhsa_kernel _ZN9rocsparseL29gebsrmm_small_blockdim_kernelILi4ELi3ELi4ELi16EfEEv20rocsparse_direction_20rocsparse_operation_iiNS_24const_host_device_scalarIT3_EEPKiS7_PKS4_iiS9_lS5_PS4_l21rocsparse_index_base_b
		.amdhsa_group_segment_fixed_size 320
		.amdhsa_private_segment_fixed_size 0
		.amdhsa_kernarg_size 104
		.amdhsa_user_sgpr_count 2
		.amdhsa_user_sgpr_dispatch_ptr 0
		.amdhsa_user_sgpr_queue_ptr 0
		.amdhsa_user_sgpr_kernarg_segment_ptr 1
		.amdhsa_user_sgpr_dispatch_id 0
		.amdhsa_user_sgpr_kernarg_preload_length 0
		.amdhsa_user_sgpr_kernarg_preload_offset 0
		.amdhsa_user_sgpr_private_segment_size 0
		.amdhsa_wavefront_size32 1
		.amdhsa_uses_dynamic_stack 0
		.amdhsa_enable_private_segment 0
		.amdhsa_system_sgpr_workgroup_id_x 1
		.amdhsa_system_sgpr_workgroup_id_y 1
		.amdhsa_system_sgpr_workgroup_id_z 0
		.amdhsa_system_sgpr_workgroup_info 0
		.amdhsa_system_vgpr_workitem_id 1
		.amdhsa_next_free_vgpr 20
		.amdhsa_next_free_sgpr 28
		.amdhsa_named_barrier_count 0
		.amdhsa_reserve_vcc 1
		.amdhsa_float_round_mode_32 0
		.amdhsa_float_round_mode_16_64 0
		.amdhsa_float_denorm_mode_32 3
		.amdhsa_float_denorm_mode_16_64 3
		.amdhsa_fp16_overflow 0
		.amdhsa_memory_ordered 1
		.amdhsa_forward_progress 1
		.amdhsa_inst_pref_size 8
		.amdhsa_round_robin_scheduling 0
		.amdhsa_exception_fp_ieee_invalid_op 0
		.amdhsa_exception_fp_denorm_src 0
		.amdhsa_exception_fp_ieee_div_zero 0
		.amdhsa_exception_fp_ieee_overflow 0
		.amdhsa_exception_fp_ieee_underflow 0
		.amdhsa_exception_fp_ieee_inexact 0
		.amdhsa_exception_int_div_zero 0
	.end_amdhsa_kernel
	.section	.text._ZN9rocsparseL29gebsrmm_small_blockdim_kernelILi4ELi3ELi4ELi16EfEEv20rocsparse_direction_20rocsparse_operation_iiNS_24const_host_device_scalarIT3_EEPKiS7_PKS4_iiS9_lS5_PS4_l21rocsparse_index_base_b,"axG",@progbits,_ZN9rocsparseL29gebsrmm_small_blockdim_kernelILi4ELi3ELi4ELi16EfEEv20rocsparse_direction_20rocsparse_operation_iiNS_24const_host_device_scalarIT3_EEPKiS7_PKS4_iiS9_lS5_PS4_l21rocsparse_index_base_b,comdat
.Lfunc_end11:
	.size	_ZN9rocsparseL29gebsrmm_small_blockdim_kernelILi4ELi3ELi4ELi16EfEEv20rocsparse_direction_20rocsparse_operation_iiNS_24const_host_device_scalarIT3_EEPKiS7_PKS4_iiS9_lS5_PS4_l21rocsparse_index_base_b, .Lfunc_end11-_ZN9rocsparseL29gebsrmm_small_blockdim_kernelILi4ELi3ELi4ELi16EfEEv20rocsparse_direction_20rocsparse_operation_iiNS_24const_host_device_scalarIT3_EEPKiS7_PKS4_iiS9_lS5_PS4_l21rocsparse_index_base_b
                                        ; -- End function
	.set _ZN9rocsparseL29gebsrmm_small_blockdim_kernelILi4ELi3ELi4ELi16EfEEv20rocsparse_direction_20rocsparse_operation_iiNS_24const_host_device_scalarIT3_EEPKiS7_PKS4_iiS9_lS5_PS4_l21rocsparse_index_base_b.num_vgpr, 20
	.set _ZN9rocsparseL29gebsrmm_small_blockdim_kernelILi4ELi3ELi4ELi16EfEEv20rocsparse_direction_20rocsparse_operation_iiNS_24const_host_device_scalarIT3_EEPKiS7_PKS4_iiS9_lS5_PS4_l21rocsparse_index_base_b.num_agpr, 0
	.set _ZN9rocsparseL29gebsrmm_small_blockdim_kernelILi4ELi3ELi4ELi16EfEEv20rocsparse_direction_20rocsparse_operation_iiNS_24const_host_device_scalarIT3_EEPKiS7_PKS4_iiS9_lS5_PS4_l21rocsparse_index_base_b.numbered_sgpr, 28
	.set _ZN9rocsparseL29gebsrmm_small_blockdim_kernelILi4ELi3ELi4ELi16EfEEv20rocsparse_direction_20rocsparse_operation_iiNS_24const_host_device_scalarIT3_EEPKiS7_PKS4_iiS9_lS5_PS4_l21rocsparse_index_base_b.num_named_barrier, 0
	.set _ZN9rocsparseL29gebsrmm_small_blockdim_kernelILi4ELi3ELi4ELi16EfEEv20rocsparse_direction_20rocsparse_operation_iiNS_24const_host_device_scalarIT3_EEPKiS7_PKS4_iiS9_lS5_PS4_l21rocsparse_index_base_b.private_seg_size, 0
	.set _ZN9rocsparseL29gebsrmm_small_blockdim_kernelILi4ELi3ELi4ELi16EfEEv20rocsparse_direction_20rocsparse_operation_iiNS_24const_host_device_scalarIT3_EEPKiS7_PKS4_iiS9_lS5_PS4_l21rocsparse_index_base_b.uses_vcc, 1
	.set _ZN9rocsparseL29gebsrmm_small_blockdim_kernelILi4ELi3ELi4ELi16EfEEv20rocsparse_direction_20rocsparse_operation_iiNS_24const_host_device_scalarIT3_EEPKiS7_PKS4_iiS9_lS5_PS4_l21rocsparse_index_base_b.uses_flat_scratch, 0
	.set _ZN9rocsparseL29gebsrmm_small_blockdim_kernelILi4ELi3ELi4ELi16EfEEv20rocsparse_direction_20rocsparse_operation_iiNS_24const_host_device_scalarIT3_EEPKiS7_PKS4_iiS9_lS5_PS4_l21rocsparse_index_base_b.has_dyn_sized_stack, 0
	.set _ZN9rocsparseL29gebsrmm_small_blockdim_kernelILi4ELi3ELi4ELi16EfEEv20rocsparse_direction_20rocsparse_operation_iiNS_24const_host_device_scalarIT3_EEPKiS7_PKS4_iiS9_lS5_PS4_l21rocsparse_index_base_b.has_recursion, 0
	.set _ZN9rocsparseL29gebsrmm_small_blockdim_kernelILi4ELi3ELi4ELi16EfEEv20rocsparse_direction_20rocsparse_operation_iiNS_24const_host_device_scalarIT3_EEPKiS7_PKS4_iiS9_lS5_PS4_l21rocsparse_index_base_b.has_indirect_call, 0
	.section	.AMDGPU.csdata,"",@progbits
; Kernel info:
; codeLenInByte = 960
; TotalNumSgprs: 30
; NumVgprs: 20
; ScratchSize: 0
; MemoryBound: 0
; FloatMode: 240
; IeeeMode: 1
; LDSByteSize: 320 bytes/workgroup (compile time only)
; SGPRBlocks: 0
; VGPRBlocks: 1
; NumSGPRsForWavesPerEU: 30
; NumVGPRsForWavesPerEU: 20
; NamedBarCnt: 0
; Occupancy: 16
; WaveLimiterHint : 1
; COMPUTE_PGM_RSRC2:SCRATCH_EN: 0
; COMPUTE_PGM_RSRC2:USER_SGPR: 2
; COMPUTE_PGM_RSRC2:TRAP_HANDLER: 0
; COMPUTE_PGM_RSRC2:TGID_X_EN: 1
; COMPUTE_PGM_RSRC2:TGID_Y_EN: 1
; COMPUTE_PGM_RSRC2:TGID_Z_EN: 0
; COMPUTE_PGM_RSRC2:TIDIG_COMP_CNT: 1
	.section	.text._ZN9rocsparseL29gebsrmm_small_blockdim_kernelILi1ELi2ELi2ELi16EdEEv20rocsparse_direction_20rocsparse_operation_iiNS_24const_host_device_scalarIT3_EEPKiS7_PKS4_iiS9_lS5_PS4_l21rocsparse_index_base_b,"axG",@progbits,_ZN9rocsparseL29gebsrmm_small_blockdim_kernelILi1ELi2ELi2ELi16EdEEv20rocsparse_direction_20rocsparse_operation_iiNS_24const_host_device_scalarIT3_EEPKiS7_PKS4_iiS9_lS5_PS4_l21rocsparse_index_base_b,comdat
	.globl	_ZN9rocsparseL29gebsrmm_small_blockdim_kernelILi1ELi2ELi2ELi16EdEEv20rocsparse_direction_20rocsparse_operation_iiNS_24const_host_device_scalarIT3_EEPKiS7_PKS4_iiS9_lS5_PS4_l21rocsparse_index_base_b ; -- Begin function _ZN9rocsparseL29gebsrmm_small_blockdim_kernelILi1ELi2ELi2ELi16EdEEv20rocsparse_direction_20rocsparse_operation_iiNS_24const_host_device_scalarIT3_EEPKiS7_PKS4_iiS9_lS5_PS4_l21rocsparse_index_base_b
	.p2align	8
	.type	_ZN9rocsparseL29gebsrmm_small_blockdim_kernelILi1ELi2ELi2ELi16EdEEv20rocsparse_direction_20rocsparse_operation_iiNS_24const_host_device_scalarIT3_EEPKiS7_PKS4_iiS9_lS5_PS4_l21rocsparse_index_base_b,@function
_ZN9rocsparseL29gebsrmm_small_blockdim_kernelILi1ELi2ELi2ELi16EdEEv20rocsparse_direction_20rocsparse_operation_iiNS_24const_host_device_scalarIT3_EEPKiS7_PKS4_iiS9_lS5_PS4_l21rocsparse_index_base_b: ; @_ZN9rocsparseL29gebsrmm_small_blockdim_kernelILi1ELi2ELi2ELi16EdEEv20rocsparse_direction_20rocsparse_operation_iiNS_24const_host_device_scalarIT3_EEPKiS7_PKS4_iiS9_lS5_PS4_l21rocsparse_index_base_b
; %bb.0:
	s_clause 0x2
	s_load_b64 s[6:7], s[0:1], 0x60
	s_load_b64 s[2:3], s[0:1], 0x10
	s_load_b128 s[8:11], s[0:1], 0x40
	s_wait_kmcnt 0x0
	s_bitcmp1_b32 s7, 0
	v_mov_b64_e32 v[4:5], s[2:3]
	s_cselect_b32 s4, -1, 0
	s_delay_alu instid0(SALU_CYCLE_1)
	s_and_b32 vcc_lo, exec_lo, s4
	s_xor_b32 s4, s4, -1
	s_cbranch_vccnz .LBB12_2
; %bb.1:
	v_mov_b32_e32 v1, 0
	flat_load_b64 v[4:5], v1, s[2:3]
.LBB12_2:
	v_mov_b64_e32 v[2:3], s[10:11]
	s_and_not1_b32 vcc_lo, exec_lo, s4
	s_cbranch_vccnz .LBB12_4
; %bb.3:
	s_wait_xcnt 0x0
	v_mov_b32_e32 v1, 0
	flat_load_b64 v[2:3], v1, s[10:11]
.LBB12_4:
	s_wait_loadcnt_dscnt 0x0
	v_cmp_neq_f64_e32 vcc_lo, 0, v[4:5]
	s_delay_alu instid0(VALU_DEP_2) | instskip(SKIP_1) | instid1(SALU_CYCLE_1)
	v_cmp_neq_f64_e64 s2, 1.0, v[2:3]
	s_or_b32 s2, vcc_lo, s2
	s_and_saveexec_b32 s3, s2
	s_cbranch_execz .LBB12_22
; %bb.5:
	s_load_b96 s[16:18], s[0:1], 0x4
	s_bfe_u32 s2, ttmp6, 0x4000c
	s_and_b32 s3, ttmp6, 15
	s_add_co_i32 s2, s2, 1
	s_mov_b32 s20, 0
	s_mul_i32 s4, ttmp9, s2
	s_getreg_b32 s2, hwreg(HW_REG_IB_STS2, 6, 4)
	s_add_co_i32 s3, s3, s4
	s_cmp_eq_u32 s2, 0
	s_mov_b32 s11, 0
	s_cselect_b32 s10, ttmp9, s3
	s_wait_kmcnt 0x0
	s_cmp_lt_i32 s10, s17
	s_cselect_b32 s7, -1, 0
	s_cmp_ge_i32 s10, s17
	s_cbranch_scc1 .LBB12_7
; %bb.6:
	s_load_b64 s[4:5], s[0:1], 0x18
	s_ashr_i32 s11, s10, 31
	s_delay_alu instid0(SALU_CYCLE_1)
	s_lshl_b64 s[12:13], s[10:11], 2
	s_wait_kmcnt 0x0
	s_add_nc_u64 s[4:5], s[4:5], s[12:13]
	s_load_b64 s[12:13], s[4:5], 0x0
	s_wait_kmcnt 0x0
	s_sub_co_i32 s20, s12, s6
	s_sub_co_i32 s11, s13, s6
.LBB12_7:
	s_bfe_u32 s3, ttmp6, 0x40010
	s_bfe_u32 s4, ttmp6, 0x40004
	s_add_co_i32 s3, s3, 1
	v_bfe_u32 v12, v0, 10, 10
	s_mul_i32 s3, ttmp7, s3
	v_and_b32_e32 v14, 0x3ff, v0
	s_add_co_i32 s4, s4, s3
	s_cmp_eq_u32 s2, 0
	v_mov_b64_e32 v[0:1], 0
	s_cselect_b32 s2, ttmp7, s4
	v_cmp_eq_u32_e64 s3, 0, v14
	v_lshl_add_u32 v6, s2, 4, v12
	s_cmp_ge_i32 s20, s11
	s_delay_alu instid0(VALU_DEP_1)
	v_ashrrev_i32_e32 v7, 31, v6
	v_cmp_gt_i32_e64 s2, s18, v6
	s_cbranch_scc1 .LBB12_17
; %bb.8:
	v_mul_u64_e32 v[0:1], s[8:9], v[6:7]
	s_clause 0x1
	s_load_b64 s[22:23], s[0:1], 0x38
	s_load_b128 s[12:15], s[0:1], 0x20
	v_dual_lshlrev_b32 v8, 1, v12 :: v_dual_lshlrev_b32 v10, 3, v14
	v_cmp_gt_u32_e32 vcc_lo, 2, v14
	v_cmp_gt_u32_e64 s4, 2, v12
	v_dual_mov_b32 v11, 0 :: v_dual_lshlrev_b32 v15, 4, v12
	s_delay_alu instid0(VALU_DEP_4)
	v_add_lshl_u32 v16, v8, v14, 3
	s_and_b32 s17, s2, vcc_lo
	s_and_b32 s18, s3, s4
	s_cmp_lg_u32 s16, 0x6f
	v_add_nc_u32_e32 v17, 0x100, v10
	s_cselect_b32 s16, -1, 0
	s_ashr_i32 s21, s20, 31
	v_add_nc_u32_e32 v18, 0x100, v16
	v_lshl_add_u32 v19, s20, 1, v12
	s_lshl_b64 s[4:5], s[20:21], 2
	s_wait_kmcnt 0x0
	v_lshl_add_u64 v[8:9], v[6:7], 3, s[22:23]
	s_add_nc_u64 s[4:5], s[12:13], s[4:5]
	v_lshl_add_u64 v[0:1], v[0:1], 3, s[22:23]
	s_delay_alu instid0(VALU_DEP_1)
	v_add_nc_u64_e32 v[10:11], v[0:1], v[10:11]
	v_mov_b64_e32 v[0:1], 0
	s_branch .LBB12_10
.LBB12_9:                               ;   in Loop: Header=BB12_10 Depth=1
	s_or_b32 exec_lo, exec_lo, s12
	s_wait_dscnt 0x0
	; wave barrier
	ds_load_b128 v[20:23], v15
	ds_load_2addr_b64 v[24:27], v17 offset1:2
	v_add_nc_u32_e32 v19, 2, v19
	s_add_co_i32 s20, s20, 1
	s_add_nc_u64 s[4:5], s[4:5], 4
	s_cmp_ge_i32 s20, s11
	s_wait_dscnt 0x0
	; wave barrier
	v_fmac_f64_e32 v[0:1], v[24:25], v[20:21]
	s_delay_alu instid0(VALU_DEP_1)
	v_fmac_f64_e32 v[0:1], v[26:27], v[22:23]
	s_cbranch_scc1 .LBB12_17
.LBB12_10:                              ; =>This Inner Loop Header: Depth=1
	v_mov_b64_e32 v[12:13], 0
	s_and_saveexec_b32 s19, s17
	s_cbranch_execz .LBB12_15
; %bb.11:                               ;   in Loop: Header=BB12_10 Depth=1
	s_load_b32 s12, s[4:5], 0x0
	s_mov_b32 s13, -1
	s_and_b32 vcc_lo, exec_lo, s16
                                        ; implicit-def: $vgpr12_vgpr13
	s_wait_kmcnt 0x0
	s_sub_co_i32 s12, s12, s6
	s_delay_alu instid0(SALU_CYCLE_1)
	s_lshl_b32 s12, s12, 1
	s_cbranch_vccz .LBB12_13
; %bb.12:                               ;   in Loop: Header=BB12_10 Depth=1
	v_or_b32_e32 v12, s12, v14
	s_mov_b32 s13, 0
	s_delay_alu instid0(VALU_DEP_1) | instskip(NEXT) | instid1(VALU_DEP_1)
	v_ashrrev_i32_e32 v13, 31, v12
	v_mul_u64_e32 v[12:13], s[8:9], v[12:13]
	s_delay_alu instid0(VALU_DEP_1)
	v_lshl_add_u64 v[12:13], v[12:13], 3, v[8:9]
	global_load_b64 v[12:13], v[12:13], off
.LBB12_13:                              ;   in Loop: Header=BB12_10 Depth=1
	s_and_not1_b32 vcc_lo, exec_lo, s13
	s_cbranch_vccnz .LBB12_15
; %bb.14:                               ;   in Loop: Header=BB12_10 Depth=1
	s_ashr_i32 s13, s12, 31
	s_wait_loadcnt 0x0
	v_lshl_add_u64 v[12:13], s[12:13], 3, v[10:11]
	global_load_b64 v[12:13], v[12:13], off
.LBB12_15:                              ;   in Loop: Header=BB12_10 Depth=1
	s_wait_xcnt 0x0
	s_or_b32 exec_lo, exec_lo, s19
	s_wait_loadcnt 0x0
	ds_store_b64 v16, v[12:13]
	s_and_saveexec_b32 s12, s18
	s_cbranch_execz .LBB12_9
; %bb.16:                               ;   in Loop: Header=BB12_10 Depth=1
	global_load_b64 v[12:13], v19, s[14:15] scale_offset
	s_wait_loadcnt 0x0
	ds_store_b64 v18, v[12:13]
	s_branch .LBB12_9
.LBB12_17:
	s_load_b64 s[4:5], s[0:1], 0x50
	s_and_b32 s2, s3, s2
	s_delay_alu instid0(SALU_CYCLE_1) | instskip(NEXT) | instid1(SALU_CYCLE_1)
	s_and_b32 s2, s7, s2
	s_and_b32 exec_lo, exec_lo, s2
	s_cbranch_execz .LBB12_22
; %bb.18:
	s_wait_xcnt 0x0
	s_load_b64 s[0:1], s[0:1], 0x58
	s_delay_alu instid0(VALU_DEP_1) | instskip(NEXT) | instid1(VALU_DEP_1)
	v_dual_mul_f64 v[0:1], v[4:5], v[0:1] :: v_dual_add_nc_u32 v4, s10, v14
	v_ashrrev_i32_e32 v5, 31, v4
	s_wait_kmcnt 0x0
	v_mul_u64_e32 v[6:7], s[0:1], v[6:7]
	s_mov_b32 s0, exec_lo
	s_delay_alu instid0(VALU_DEP_1)
	v_lshl_add_u64 v[6:7], v[6:7], 3, s[4:5]
	v_cmpx_neq_f64_e32 0, v[2:3]
	s_xor_b32 s0, exec_lo, s0
	s_cbranch_execz .LBB12_20
; %bb.19:
	s_delay_alu instid0(VALU_DEP_2)
	v_lshl_add_u64 v[4:5], v[4:5], 3, v[6:7]
	global_load_b64 v[6:7], v[4:5], off
	s_wait_loadcnt 0x0
	v_fmac_f64_e32 v[0:1], v[2:3], v[6:7]
                                        ; implicit-def: $vgpr6_vgpr7
	global_store_b64 v[4:5], v[0:1], off
                                        ; implicit-def: $vgpr4
                                        ; implicit-def: $vgpr0_vgpr1
.LBB12_20:
	s_wait_xcnt 0x0
	s_and_not1_saveexec_b32 s0, s0
	s_cbranch_execz .LBB12_22
; %bb.21:
	v_lshl_add_u64 v[2:3], v[4:5], 3, v[6:7]
	global_store_b64 v[2:3], v[0:1], off
.LBB12_22:
	s_endpgm
	.section	.rodata,"a",@progbits
	.p2align	6, 0x0
	.amdhsa_kernel _ZN9rocsparseL29gebsrmm_small_blockdim_kernelILi1ELi2ELi2ELi16EdEEv20rocsparse_direction_20rocsparse_operation_iiNS_24const_host_device_scalarIT3_EEPKiS7_PKS4_iiS9_lS5_PS4_l21rocsparse_index_base_b
		.amdhsa_group_segment_fixed_size 288
		.amdhsa_private_segment_fixed_size 0
		.amdhsa_kernarg_size 104
		.amdhsa_user_sgpr_count 2
		.amdhsa_user_sgpr_dispatch_ptr 0
		.amdhsa_user_sgpr_queue_ptr 0
		.amdhsa_user_sgpr_kernarg_segment_ptr 1
		.amdhsa_user_sgpr_dispatch_id 0
		.amdhsa_user_sgpr_kernarg_preload_length 0
		.amdhsa_user_sgpr_kernarg_preload_offset 0
		.amdhsa_user_sgpr_private_segment_size 0
		.amdhsa_wavefront_size32 1
		.amdhsa_uses_dynamic_stack 0
		.amdhsa_enable_private_segment 0
		.amdhsa_system_sgpr_workgroup_id_x 1
		.amdhsa_system_sgpr_workgroup_id_y 1
		.amdhsa_system_sgpr_workgroup_id_z 0
		.amdhsa_system_sgpr_workgroup_info 0
		.amdhsa_system_vgpr_workitem_id 1
		.amdhsa_next_free_vgpr 28
		.amdhsa_next_free_sgpr 24
		.amdhsa_named_barrier_count 0
		.amdhsa_reserve_vcc 1
		.amdhsa_float_round_mode_32 0
		.amdhsa_float_round_mode_16_64 0
		.amdhsa_float_denorm_mode_32 3
		.amdhsa_float_denorm_mode_16_64 3
		.amdhsa_fp16_overflow 0
		.amdhsa_memory_ordered 1
		.amdhsa_forward_progress 1
		.amdhsa_inst_pref_size 8
		.amdhsa_round_robin_scheduling 0
		.amdhsa_exception_fp_ieee_invalid_op 0
		.amdhsa_exception_fp_denorm_src 0
		.amdhsa_exception_fp_ieee_div_zero 0
		.amdhsa_exception_fp_ieee_overflow 0
		.amdhsa_exception_fp_ieee_underflow 0
		.amdhsa_exception_fp_ieee_inexact 0
		.amdhsa_exception_int_div_zero 0
	.end_amdhsa_kernel
	.section	.text._ZN9rocsparseL29gebsrmm_small_blockdim_kernelILi1ELi2ELi2ELi16EdEEv20rocsparse_direction_20rocsparse_operation_iiNS_24const_host_device_scalarIT3_EEPKiS7_PKS4_iiS9_lS5_PS4_l21rocsparse_index_base_b,"axG",@progbits,_ZN9rocsparseL29gebsrmm_small_blockdim_kernelILi1ELi2ELi2ELi16EdEEv20rocsparse_direction_20rocsparse_operation_iiNS_24const_host_device_scalarIT3_EEPKiS7_PKS4_iiS9_lS5_PS4_l21rocsparse_index_base_b,comdat
.Lfunc_end12:
	.size	_ZN9rocsparseL29gebsrmm_small_blockdim_kernelILi1ELi2ELi2ELi16EdEEv20rocsparse_direction_20rocsparse_operation_iiNS_24const_host_device_scalarIT3_EEPKiS7_PKS4_iiS9_lS5_PS4_l21rocsparse_index_base_b, .Lfunc_end12-_ZN9rocsparseL29gebsrmm_small_blockdim_kernelILi1ELi2ELi2ELi16EdEEv20rocsparse_direction_20rocsparse_operation_iiNS_24const_host_device_scalarIT3_EEPKiS7_PKS4_iiS9_lS5_PS4_l21rocsparse_index_base_b
                                        ; -- End function
	.set _ZN9rocsparseL29gebsrmm_small_blockdim_kernelILi1ELi2ELi2ELi16EdEEv20rocsparse_direction_20rocsparse_operation_iiNS_24const_host_device_scalarIT3_EEPKiS7_PKS4_iiS9_lS5_PS4_l21rocsparse_index_base_b.num_vgpr, 28
	.set _ZN9rocsparseL29gebsrmm_small_blockdim_kernelILi1ELi2ELi2ELi16EdEEv20rocsparse_direction_20rocsparse_operation_iiNS_24const_host_device_scalarIT3_EEPKiS7_PKS4_iiS9_lS5_PS4_l21rocsparse_index_base_b.num_agpr, 0
	.set _ZN9rocsparseL29gebsrmm_small_blockdim_kernelILi1ELi2ELi2ELi16EdEEv20rocsparse_direction_20rocsparse_operation_iiNS_24const_host_device_scalarIT3_EEPKiS7_PKS4_iiS9_lS5_PS4_l21rocsparse_index_base_b.numbered_sgpr, 24
	.set _ZN9rocsparseL29gebsrmm_small_blockdim_kernelILi1ELi2ELi2ELi16EdEEv20rocsparse_direction_20rocsparse_operation_iiNS_24const_host_device_scalarIT3_EEPKiS7_PKS4_iiS9_lS5_PS4_l21rocsparse_index_base_b.num_named_barrier, 0
	.set _ZN9rocsparseL29gebsrmm_small_blockdim_kernelILi1ELi2ELi2ELi16EdEEv20rocsparse_direction_20rocsparse_operation_iiNS_24const_host_device_scalarIT3_EEPKiS7_PKS4_iiS9_lS5_PS4_l21rocsparse_index_base_b.private_seg_size, 0
	.set _ZN9rocsparseL29gebsrmm_small_blockdim_kernelILi1ELi2ELi2ELi16EdEEv20rocsparse_direction_20rocsparse_operation_iiNS_24const_host_device_scalarIT3_EEPKiS7_PKS4_iiS9_lS5_PS4_l21rocsparse_index_base_b.uses_vcc, 1
	.set _ZN9rocsparseL29gebsrmm_small_blockdim_kernelILi1ELi2ELi2ELi16EdEEv20rocsparse_direction_20rocsparse_operation_iiNS_24const_host_device_scalarIT3_EEPKiS7_PKS4_iiS9_lS5_PS4_l21rocsparse_index_base_b.uses_flat_scratch, 0
	.set _ZN9rocsparseL29gebsrmm_small_blockdim_kernelILi1ELi2ELi2ELi16EdEEv20rocsparse_direction_20rocsparse_operation_iiNS_24const_host_device_scalarIT3_EEPKiS7_PKS4_iiS9_lS5_PS4_l21rocsparse_index_base_b.has_dyn_sized_stack, 0
	.set _ZN9rocsparseL29gebsrmm_small_blockdim_kernelILi1ELi2ELi2ELi16EdEEv20rocsparse_direction_20rocsparse_operation_iiNS_24const_host_device_scalarIT3_EEPKiS7_PKS4_iiS9_lS5_PS4_l21rocsparse_index_base_b.has_recursion, 0
	.set _ZN9rocsparseL29gebsrmm_small_blockdim_kernelILi1ELi2ELi2ELi16EdEEv20rocsparse_direction_20rocsparse_operation_iiNS_24const_host_device_scalarIT3_EEPKiS7_PKS4_iiS9_lS5_PS4_l21rocsparse_index_base_b.has_indirect_call, 0
	.section	.AMDGPU.csdata,"",@progbits
; Kernel info:
; codeLenInByte = 940
; TotalNumSgprs: 26
; NumVgprs: 28
; ScratchSize: 0
; MemoryBound: 0
; FloatMode: 240
; IeeeMode: 1
; LDSByteSize: 288 bytes/workgroup (compile time only)
; SGPRBlocks: 0
; VGPRBlocks: 1
; NumSGPRsForWavesPerEU: 26
; NumVGPRsForWavesPerEU: 28
; NamedBarCnt: 0
; Occupancy: 16
; WaveLimiterHint : 1
; COMPUTE_PGM_RSRC2:SCRATCH_EN: 0
; COMPUTE_PGM_RSRC2:USER_SGPR: 2
; COMPUTE_PGM_RSRC2:TRAP_HANDLER: 0
; COMPUTE_PGM_RSRC2:TGID_X_EN: 1
; COMPUTE_PGM_RSRC2:TGID_Y_EN: 1
; COMPUTE_PGM_RSRC2:TGID_Z_EN: 0
; COMPUTE_PGM_RSRC2:TIDIG_COMP_CNT: 1
	.section	.text._ZN9rocsparseL29gebsrmm_small_blockdim_kernelILi1ELi3ELi3ELi16EdEEv20rocsparse_direction_20rocsparse_operation_iiNS_24const_host_device_scalarIT3_EEPKiS7_PKS4_iiS9_lS5_PS4_l21rocsparse_index_base_b,"axG",@progbits,_ZN9rocsparseL29gebsrmm_small_blockdim_kernelILi1ELi3ELi3ELi16EdEEv20rocsparse_direction_20rocsparse_operation_iiNS_24const_host_device_scalarIT3_EEPKiS7_PKS4_iiS9_lS5_PS4_l21rocsparse_index_base_b,comdat
	.globl	_ZN9rocsparseL29gebsrmm_small_blockdim_kernelILi1ELi3ELi3ELi16EdEEv20rocsparse_direction_20rocsparse_operation_iiNS_24const_host_device_scalarIT3_EEPKiS7_PKS4_iiS9_lS5_PS4_l21rocsparse_index_base_b ; -- Begin function _ZN9rocsparseL29gebsrmm_small_blockdim_kernelILi1ELi3ELi3ELi16EdEEv20rocsparse_direction_20rocsparse_operation_iiNS_24const_host_device_scalarIT3_EEPKiS7_PKS4_iiS9_lS5_PS4_l21rocsparse_index_base_b
	.p2align	8
	.type	_ZN9rocsparseL29gebsrmm_small_blockdim_kernelILi1ELi3ELi3ELi16EdEEv20rocsparse_direction_20rocsparse_operation_iiNS_24const_host_device_scalarIT3_EEPKiS7_PKS4_iiS9_lS5_PS4_l21rocsparse_index_base_b,@function
_ZN9rocsparseL29gebsrmm_small_blockdim_kernelILi1ELi3ELi3ELi16EdEEv20rocsparse_direction_20rocsparse_operation_iiNS_24const_host_device_scalarIT3_EEPKiS7_PKS4_iiS9_lS5_PS4_l21rocsparse_index_base_b: ; @_ZN9rocsparseL29gebsrmm_small_blockdim_kernelILi1ELi3ELi3ELi16EdEEv20rocsparse_direction_20rocsparse_operation_iiNS_24const_host_device_scalarIT3_EEPKiS7_PKS4_iiS9_lS5_PS4_l21rocsparse_index_base_b
; %bb.0:
	s_clause 0x2
	s_load_b64 s[6:7], s[0:1], 0x60
	s_load_b64 s[2:3], s[0:1], 0x10
	s_load_b128 s[8:11], s[0:1], 0x40
	s_wait_kmcnt 0x0
	s_bitcmp1_b32 s7, 0
	v_mov_b64_e32 v[4:5], s[2:3]
	s_cselect_b32 s4, -1, 0
	s_delay_alu instid0(SALU_CYCLE_1)
	s_and_b32 vcc_lo, exec_lo, s4
	s_xor_b32 s4, s4, -1
	s_cbranch_vccnz .LBB13_2
; %bb.1:
	v_mov_b32_e32 v1, 0
	flat_load_b64 v[4:5], v1, s[2:3]
.LBB13_2:
	v_mov_b64_e32 v[2:3], s[10:11]
	s_and_not1_b32 vcc_lo, exec_lo, s4
	s_cbranch_vccnz .LBB13_4
; %bb.3:
	s_wait_xcnt 0x0
	v_mov_b32_e32 v1, 0
	flat_load_b64 v[2:3], v1, s[10:11]
.LBB13_4:
	s_wait_loadcnt_dscnt 0x0
	v_cmp_neq_f64_e32 vcc_lo, 0, v[4:5]
	s_delay_alu instid0(VALU_DEP_2) | instskip(SKIP_1) | instid1(SALU_CYCLE_1)
	v_cmp_neq_f64_e64 s2, 1.0, v[2:3]
	s_or_b32 s2, vcc_lo, s2
	s_and_saveexec_b32 s3, s2
	s_cbranch_execz .LBB13_22
; %bb.5:
	s_load_b96 s[16:18], s[0:1], 0x4
	s_bfe_u32 s2, ttmp6, 0x4000c
	s_and_b32 s3, ttmp6, 15
	s_add_co_i32 s2, s2, 1
	s_mov_b32 s20, 0
	s_mul_i32 s4, ttmp9, s2
	s_getreg_b32 s2, hwreg(HW_REG_IB_STS2, 6, 4)
	s_add_co_i32 s3, s3, s4
	s_cmp_eq_u32 s2, 0
	s_mov_b32 s11, 0
	s_cselect_b32 s10, ttmp9, s3
	s_wait_kmcnt 0x0
	s_cmp_lt_i32 s10, s17
	s_cselect_b32 s7, -1, 0
	s_cmp_ge_i32 s10, s17
	s_cbranch_scc1 .LBB13_7
; %bb.6:
	s_load_b64 s[4:5], s[0:1], 0x18
	s_ashr_i32 s11, s10, 31
	s_delay_alu instid0(SALU_CYCLE_1)
	s_lshl_b64 s[12:13], s[10:11], 2
	s_wait_kmcnt 0x0
	s_add_nc_u64 s[4:5], s[4:5], s[12:13]
	s_load_b64 s[12:13], s[4:5], 0x0
	s_wait_kmcnt 0x0
	s_sub_co_i32 s20, s12, s6
	s_sub_co_i32 s11, s13, s6
.LBB13_7:
	s_bfe_u32 s3, ttmp6, 0x40010
	s_bfe_u32 s4, ttmp6, 0x40004
	s_add_co_i32 s3, s3, 1
	v_bfe_u32 v8, v0, 10, 10
	s_mul_i32 s3, ttmp7, s3
	v_and_b32_e32 v14, 0x3ff, v0
	s_add_co_i32 s4, s4, s3
	s_cmp_eq_u32 s2, 0
	v_mov_b64_e32 v[0:1], 0
	s_cselect_b32 s2, ttmp7, s4
	v_cmp_eq_u32_e64 s3, 0, v14
	v_lshl_add_u32 v6, s2, 4, v8
	s_cmp_ge_i32 s20, s11
	s_delay_alu instid0(VALU_DEP_1)
	v_ashrrev_i32_e32 v7, 31, v6
	v_cmp_gt_i32_e64 s2, s18, v6
	s_cbranch_scc1 .LBB13_17
; %bb.8:
	v_mul_u64_e32 v[0:1], s[8:9], v[6:7]
	s_clause 0x1
	s_load_b64 s[22:23], s[0:1], 0x38
	s_load_b128 s[12:15], s[0:1], 0x20
	v_mul_u32_u24_e32 v12, 3, v8
	v_cmp_gt_u32_e32 vcc_lo, 3, v14
	v_cmp_gt_u32_e64 s4, 3, v8
	v_dual_mov_b32 v11, 0 :: v_dual_lshlrev_b32 v10, 3, v14
	v_mad_u32 v15, s20, 3, v8
	v_add_lshl_u32 v16, v12, v14, 3
	s_and_b32 s17, s2, vcc_lo
	s_and_b32 s18, s3, s4
	s_cmp_lg_u32 s16, 0x6f
	v_add_nc_u32_e32 v17, 0x180, v10
	s_cselect_b32 s16, -1, 0
	s_ashr_i32 s21, s20, 31
	v_add_nc_u32_e32 v18, 0x180, v16
	v_lshlrev_b32_e32 v19, 3, v12
	s_lshl_b64 s[4:5], s[20:21], 2
	s_wait_kmcnt 0x0
	v_lshl_add_u64 v[8:9], v[6:7], 3, s[22:23]
	s_add_nc_u64 s[4:5], s[12:13], s[4:5]
	v_lshl_add_u64 v[0:1], v[0:1], 3, s[22:23]
	s_delay_alu instid0(VALU_DEP_1)
	v_add_nc_u64_e32 v[10:11], v[0:1], v[10:11]
	v_mov_b64_e32 v[0:1], 0
	s_branch .LBB13_10
.LBB13_9:                               ;   in Loop: Header=BB13_10 Depth=1
	s_or_b32 exec_lo, exec_lo, s12
	s_wait_dscnt 0x0
	s_barrier_signal -1
	s_barrier_wait -1
	ds_load_2addr_b64 v[20:23], v17 offset1:3
	ds_load_2addr_b64 v[24:27], v19 offset1:1
	ds_load_b64 v[12:13], v17 offset:48
	v_add_nc_u32_e32 v15, 3, v15
	s_add_co_i32 s20, s20, 1
	s_add_nc_u64 s[4:5], s[4:5], 4
	s_cmp_ge_i32 s20, s11
	s_wait_dscnt 0x1
	v_fmac_f64_e32 v[0:1], v[20:21], v[24:25]
	ds_load_b64 v[20:21], v19 offset:16
	s_wait_dscnt 0x0
	s_barrier_signal -1
	s_barrier_wait -1
	v_fmac_f64_e32 v[0:1], v[22:23], v[26:27]
	s_delay_alu instid0(VALU_DEP_1)
	v_fmac_f64_e32 v[0:1], v[12:13], v[20:21]
	s_cbranch_scc1 .LBB13_17
.LBB13_10:                              ; =>This Inner Loop Header: Depth=1
	v_mov_b64_e32 v[12:13], 0
	s_and_saveexec_b32 s19, s17
	s_cbranch_execz .LBB13_15
; %bb.11:                               ;   in Loop: Header=BB13_10 Depth=1
	s_load_b32 s12, s[4:5], 0x0
	s_mov_b32 s13, -1
	s_and_b32 vcc_lo, exec_lo, s16
                                        ; implicit-def: $vgpr12_vgpr13
	s_wait_kmcnt 0x0
	s_sub_co_i32 s12, s12, s6
	s_delay_alu instid0(SALU_CYCLE_1)
	s_mul_i32 s12, s12, 3
	s_cbranch_vccz .LBB13_13
; %bb.12:                               ;   in Loop: Header=BB13_10 Depth=1
	v_add_nc_u32_e32 v12, s12, v14
	s_mov_b32 s13, 0
	s_delay_alu instid0(VALU_DEP_1) | instskip(NEXT) | instid1(VALU_DEP_1)
	v_ashrrev_i32_e32 v13, 31, v12
	v_mul_u64_e32 v[12:13], s[8:9], v[12:13]
	s_delay_alu instid0(VALU_DEP_1)
	v_lshl_add_u64 v[12:13], v[12:13], 3, v[8:9]
	global_load_b64 v[12:13], v[12:13], off
.LBB13_13:                              ;   in Loop: Header=BB13_10 Depth=1
	s_and_not1_b32 vcc_lo, exec_lo, s13
	s_cbranch_vccnz .LBB13_15
; %bb.14:                               ;   in Loop: Header=BB13_10 Depth=1
	s_ashr_i32 s13, s12, 31
	s_wait_loadcnt 0x0
	v_lshl_add_u64 v[12:13], s[12:13], 3, v[10:11]
	global_load_b64 v[12:13], v[12:13], off
.LBB13_15:                              ;   in Loop: Header=BB13_10 Depth=1
	s_wait_xcnt 0x0
	s_or_b32 exec_lo, exec_lo, s19
	s_wait_loadcnt 0x0
	ds_store_b64 v16, v[12:13]
	s_and_saveexec_b32 s12, s18
	s_cbranch_execz .LBB13_9
; %bb.16:                               ;   in Loop: Header=BB13_10 Depth=1
	global_load_b64 v[12:13], v15, s[14:15] scale_offset
	s_wait_loadcnt 0x0
	ds_store_b64 v18, v[12:13]
	s_branch .LBB13_9
.LBB13_17:
	s_load_b64 s[4:5], s[0:1], 0x50
	s_and_b32 s2, s3, s2
	s_delay_alu instid0(SALU_CYCLE_1) | instskip(NEXT) | instid1(SALU_CYCLE_1)
	s_and_b32 s2, s7, s2
	s_and_b32 exec_lo, exec_lo, s2
	s_cbranch_execz .LBB13_22
; %bb.18:
	s_wait_xcnt 0x0
	s_load_b64 s[0:1], s[0:1], 0x58
	s_delay_alu instid0(VALU_DEP_1) | instskip(NEXT) | instid1(VALU_DEP_1)
	v_dual_mul_f64 v[0:1], v[4:5], v[0:1] :: v_dual_add_nc_u32 v4, s10, v14
	v_ashrrev_i32_e32 v5, 31, v4
	s_wait_kmcnt 0x0
	v_mul_u64_e32 v[6:7], s[0:1], v[6:7]
	s_mov_b32 s0, exec_lo
	s_delay_alu instid0(VALU_DEP_1)
	v_lshl_add_u64 v[6:7], v[6:7], 3, s[4:5]
	v_cmpx_neq_f64_e32 0, v[2:3]
	s_xor_b32 s0, exec_lo, s0
	s_cbranch_execz .LBB13_20
; %bb.19:
	s_delay_alu instid0(VALU_DEP_2)
	v_lshl_add_u64 v[4:5], v[4:5], 3, v[6:7]
	global_load_b64 v[6:7], v[4:5], off
	s_wait_loadcnt 0x0
	v_fmac_f64_e32 v[0:1], v[2:3], v[6:7]
                                        ; implicit-def: $vgpr6_vgpr7
	global_store_b64 v[4:5], v[0:1], off
                                        ; implicit-def: $vgpr4
                                        ; implicit-def: $vgpr0_vgpr1
.LBB13_20:
	s_wait_xcnt 0x0
	s_and_not1_saveexec_b32 s0, s0
	s_cbranch_execz .LBB13_22
; %bb.21:
	v_lshl_add_u64 v[2:3], v[4:5], 3, v[6:7]
	global_store_b64 v[2:3], v[0:1], off
.LBB13_22:
	s_endpgm
	.section	.rodata,"a",@progbits
	.p2align	6, 0x0
	.amdhsa_kernel _ZN9rocsparseL29gebsrmm_small_blockdim_kernelILi1ELi3ELi3ELi16EdEEv20rocsparse_direction_20rocsparse_operation_iiNS_24const_host_device_scalarIT3_EEPKiS7_PKS4_iiS9_lS5_PS4_l21rocsparse_index_base_b
		.amdhsa_group_segment_fixed_size 456
		.amdhsa_private_segment_fixed_size 0
		.amdhsa_kernarg_size 104
		.amdhsa_user_sgpr_count 2
		.amdhsa_user_sgpr_dispatch_ptr 0
		.amdhsa_user_sgpr_queue_ptr 0
		.amdhsa_user_sgpr_kernarg_segment_ptr 1
		.amdhsa_user_sgpr_dispatch_id 0
		.amdhsa_user_sgpr_kernarg_preload_length 0
		.amdhsa_user_sgpr_kernarg_preload_offset 0
		.amdhsa_user_sgpr_private_segment_size 0
		.amdhsa_wavefront_size32 1
		.amdhsa_uses_dynamic_stack 0
		.amdhsa_enable_private_segment 0
		.amdhsa_system_sgpr_workgroup_id_x 1
		.amdhsa_system_sgpr_workgroup_id_y 1
		.amdhsa_system_sgpr_workgroup_id_z 0
		.amdhsa_system_sgpr_workgroup_info 0
		.amdhsa_system_vgpr_workitem_id 1
		.amdhsa_next_free_vgpr 28
		.amdhsa_next_free_sgpr 24
		.amdhsa_named_barrier_count 0
		.amdhsa_reserve_vcc 1
		.amdhsa_float_round_mode_32 0
		.amdhsa_float_round_mode_16_64 0
		.amdhsa_float_denorm_mode_32 3
		.amdhsa_float_denorm_mode_16_64 3
		.amdhsa_fp16_overflow 0
		.amdhsa_memory_ordered 1
		.amdhsa_forward_progress 1
		.amdhsa_inst_pref_size 8
		.amdhsa_round_robin_scheduling 0
		.amdhsa_exception_fp_ieee_invalid_op 0
		.amdhsa_exception_fp_denorm_src 0
		.amdhsa_exception_fp_ieee_div_zero 0
		.amdhsa_exception_fp_ieee_overflow 0
		.amdhsa_exception_fp_ieee_underflow 0
		.amdhsa_exception_fp_ieee_inexact 0
		.amdhsa_exception_int_div_zero 0
	.end_amdhsa_kernel
	.section	.text._ZN9rocsparseL29gebsrmm_small_blockdim_kernelILi1ELi3ELi3ELi16EdEEv20rocsparse_direction_20rocsparse_operation_iiNS_24const_host_device_scalarIT3_EEPKiS7_PKS4_iiS9_lS5_PS4_l21rocsparse_index_base_b,"axG",@progbits,_ZN9rocsparseL29gebsrmm_small_blockdim_kernelILi1ELi3ELi3ELi16EdEEv20rocsparse_direction_20rocsparse_operation_iiNS_24const_host_device_scalarIT3_EEPKiS7_PKS4_iiS9_lS5_PS4_l21rocsparse_index_base_b,comdat
.Lfunc_end13:
	.size	_ZN9rocsparseL29gebsrmm_small_blockdim_kernelILi1ELi3ELi3ELi16EdEEv20rocsparse_direction_20rocsparse_operation_iiNS_24const_host_device_scalarIT3_EEPKiS7_PKS4_iiS9_lS5_PS4_l21rocsparse_index_base_b, .Lfunc_end13-_ZN9rocsparseL29gebsrmm_small_blockdim_kernelILi1ELi3ELi3ELi16EdEEv20rocsparse_direction_20rocsparse_operation_iiNS_24const_host_device_scalarIT3_EEPKiS7_PKS4_iiS9_lS5_PS4_l21rocsparse_index_base_b
                                        ; -- End function
	.set _ZN9rocsparseL29gebsrmm_small_blockdim_kernelILi1ELi3ELi3ELi16EdEEv20rocsparse_direction_20rocsparse_operation_iiNS_24const_host_device_scalarIT3_EEPKiS7_PKS4_iiS9_lS5_PS4_l21rocsparse_index_base_b.num_vgpr, 28
	.set _ZN9rocsparseL29gebsrmm_small_blockdim_kernelILi1ELi3ELi3ELi16EdEEv20rocsparse_direction_20rocsparse_operation_iiNS_24const_host_device_scalarIT3_EEPKiS7_PKS4_iiS9_lS5_PS4_l21rocsparse_index_base_b.num_agpr, 0
	.set _ZN9rocsparseL29gebsrmm_small_blockdim_kernelILi1ELi3ELi3ELi16EdEEv20rocsparse_direction_20rocsparse_operation_iiNS_24const_host_device_scalarIT3_EEPKiS7_PKS4_iiS9_lS5_PS4_l21rocsparse_index_base_b.numbered_sgpr, 24
	.set _ZN9rocsparseL29gebsrmm_small_blockdim_kernelILi1ELi3ELi3ELi16EdEEv20rocsparse_direction_20rocsparse_operation_iiNS_24const_host_device_scalarIT3_EEPKiS7_PKS4_iiS9_lS5_PS4_l21rocsparse_index_base_b.num_named_barrier, 0
	.set _ZN9rocsparseL29gebsrmm_small_blockdim_kernelILi1ELi3ELi3ELi16EdEEv20rocsparse_direction_20rocsparse_operation_iiNS_24const_host_device_scalarIT3_EEPKiS7_PKS4_iiS9_lS5_PS4_l21rocsparse_index_base_b.private_seg_size, 0
	.set _ZN9rocsparseL29gebsrmm_small_blockdim_kernelILi1ELi3ELi3ELi16EdEEv20rocsparse_direction_20rocsparse_operation_iiNS_24const_host_device_scalarIT3_EEPKiS7_PKS4_iiS9_lS5_PS4_l21rocsparse_index_base_b.uses_vcc, 1
	.set _ZN9rocsparseL29gebsrmm_small_blockdim_kernelILi1ELi3ELi3ELi16EdEEv20rocsparse_direction_20rocsparse_operation_iiNS_24const_host_device_scalarIT3_EEPKiS7_PKS4_iiS9_lS5_PS4_l21rocsparse_index_base_b.uses_flat_scratch, 0
	.set _ZN9rocsparseL29gebsrmm_small_blockdim_kernelILi1ELi3ELi3ELi16EdEEv20rocsparse_direction_20rocsparse_operation_iiNS_24const_host_device_scalarIT3_EEPKiS7_PKS4_iiS9_lS5_PS4_l21rocsparse_index_base_b.has_dyn_sized_stack, 0
	.set _ZN9rocsparseL29gebsrmm_small_blockdim_kernelILi1ELi3ELi3ELi16EdEEv20rocsparse_direction_20rocsparse_operation_iiNS_24const_host_device_scalarIT3_EEPKiS7_PKS4_iiS9_lS5_PS4_l21rocsparse_index_base_b.has_recursion, 0
	.set _ZN9rocsparseL29gebsrmm_small_blockdim_kernelILi1ELi3ELi3ELi16EdEEv20rocsparse_direction_20rocsparse_operation_iiNS_24const_host_device_scalarIT3_EEPKiS7_PKS4_iiS9_lS5_PS4_l21rocsparse_index_base_b.has_indirect_call, 0
	.section	.AMDGPU.csdata,"",@progbits
; Kernel info:
; codeLenInByte = 968
; TotalNumSgprs: 26
; NumVgprs: 28
; ScratchSize: 0
; MemoryBound: 0
; FloatMode: 240
; IeeeMode: 1
; LDSByteSize: 456 bytes/workgroup (compile time only)
; SGPRBlocks: 0
; VGPRBlocks: 1
; NumSGPRsForWavesPerEU: 26
; NumVGPRsForWavesPerEU: 28
; NamedBarCnt: 0
; Occupancy: 16
; WaveLimiterHint : 1
; COMPUTE_PGM_RSRC2:SCRATCH_EN: 0
; COMPUTE_PGM_RSRC2:USER_SGPR: 2
; COMPUTE_PGM_RSRC2:TRAP_HANDLER: 0
; COMPUTE_PGM_RSRC2:TGID_X_EN: 1
; COMPUTE_PGM_RSRC2:TGID_Y_EN: 1
; COMPUTE_PGM_RSRC2:TGID_Z_EN: 0
; COMPUTE_PGM_RSRC2:TIDIG_COMP_CNT: 1
	.section	.text._ZN9rocsparseL29gebsrmm_small_blockdim_kernelILi1ELi4ELi4ELi16EdEEv20rocsparse_direction_20rocsparse_operation_iiNS_24const_host_device_scalarIT3_EEPKiS7_PKS4_iiS9_lS5_PS4_l21rocsparse_index_base_b,"axG",@progbits,_ZN9rocsparseL29gebsrmm_small_blockdim_kernelILi1ELi4ELi4ELi16EdEEv20rocsparse_direction_20rocsparse_operation_iiNS_24const_host_device_scalarIT3_EEPKiS7_PKS4_iiS9_lS5_PS4_l21rocsparse_index_base_b,comdat
	.globl	_ZN9rocsparseL29gebsrmm_small_blockdim_kernelILi1ELi4ELi4ELi16EdEEv20rocsparse_direction_20rocsparse_operation_iiNS_24const_host_device_scalarIT3_EEPKiS7_PKS4_iiS9_lS5_PS4_l21rocsparse_index_base_b ; -- Begin function _ZN9rocsparseL29gebsrmm_small_blockdim_kernelILi1ELi4ELi4ELi16EdEEv20rocsparse_direction_20rocsparse_operation_iiNS_24const_host_device_scalarIT3_EEPKiS7_PKS4_iiS9_lS5_PS4_l21rocsparse_index_base_b
	.p2align	8
	.type	_ZN9rocsparseL29gebsrmm_small_blockdim_kernelILi1ELi4ELi4ELi16EdEEv20rocsparse_direction_20rocsparse_operation_iiNS_24const_host_device_scalarIT3_EEPKiS7_PKS4_iiS9_lS5_PS4_l21rocsparse_index_base_b,@function
_ZN9rocsparseL29gebsrmm_small_blockdim_kernelILi1ELi4ELi4ELi16EdEEv20rocsparse_direction_20rocsparse_operation_iiNS_24const_host_device_scalarIT3_EEPKiS7_PKS4_iiS9_lS5_PS4_l21rocsparse_index_base_b: ; @_ZN9rocsparseL29gebsrmm_small_blockdim_kernelILi1ELi4ELi4ELi16EdEEv20rocsparse_direction_20rocsparse_operation_iiNS_24const_host_device_scalarIT3_EEPKiS7_PKS4_iiS9_lS5_PS4_l21rocsparse_index_base_b
; %bb.0:
	s_clause 0x2
	s_load_b64 s[6:7], s[0:1], 0x60
	s_load_b64 s[2:3], s[0:1], 0x10
	s_load_b128 s[8:11], s[0:1], 0x40
	s_wait_kmcnt 0x0
	s_bitcmp1_b32 s7, 0
	v_mov_b64_e32 v[4:5], s[2:3]
	s_cselect_b32 s4, -1, 0
	s_delay_alu instid0(SALU_CYCLE_1)
	s_and_b32 vcc_lo, exec_lo, s4
	s_xor_b32 s4, s4, -1
	s_cbranch_vccnz .LBB14_2
; %bb.1:
	v_mov_b32_e32 v1, 0
	flat_load_b64 v[4:5], v1, s[2:3]
.LBB14_2:
	v_mov_b64_e32 v[2:3], s[10:11]
	s_and_not1_b32 vcc_lo, exec_lo, s4
	s_cbranch_vccnz .LBB14_4
; %bb.3:
	s_wait_xcnt 0x0
	v_mov_b32_e32 v1, 0
	flat_load_b64 v[2:3], v1, s[10:11]
.LBB14_4:
	s_wait_loadcnt_dscnt 0x0
	v_cmp_neq_f64_e32 vcc_lo, 0, v[4:5]
	s_delay_alu instid0(VALU_DEP_2) | instskip(SKIP_1) | instid1(SALU_CYCLE_1)
	v_cmp_neq_f64_e64 s2, 1.0, v[2:3]
	s_or_b32 s2, vcc_lo, s2
	s_and_saveexec_b32 s3, s2
	s_cbranch_execz .LBB14_22
; %bb.5:
	s_load_b96 s[16:18], s[0:1], 0x4
	s_bfe_u32 s2, ttmp6, 0x4000c
	s_and_b32 s3, ttmp6, 15
	s_add_co_i32 s2, s2, 1
	s_mov_b32 s20, 0
	s_mul_i32 s4, ttmp9, s2
	s_getreg_b32 s2, hwreg(HW_REG_IB_STS2, 6, 4)
	s_add_co_i32 s3, s3, s4
	s_cmp_eq_u32 s2, 0
	s_mov_b32 s11, 0
	s_cselect_b32 s10, ttmp9, s3
	s_wait_kmcnt 0x0
	s_cmp_lt_i32 s10, s17
	s_cselect_b32 s7, -1, 0
	s_cmp_ge_i32 s10, s17
	s_cbranch_scc1 .LBB14_7
; %bb.6:
	s_load_b64 s[4:5], s[0:1], 0x18
	s_ashr_i32 s11, s10, 31
	s_delay_alu instid0(SALU_CYCLE_1)
	s_lshl_b64 s[12:13], s[10:11], 2
	s_wait_kmcnt 0x0
	s_add_nc_u64 s[4:5], s[4:5], s[12:13]
	s_load_b64 s[12:13], s[4:5], 0x0
	s_wait_kmcnt 0x0
	s_sub_co_i32 s20, s12, s6
	s_sub_co_i32 s11, s13, s6
.LBB14_7:
	s_bfe_u32 s3, ttmp6, 0x40010
	s_bfe_u32 s4, ttmp6, 0x40004
	s_add_co_i32 s3, s3, 1
	v_bfe_u32 v12, v0, 10, 10
	s_mul_i32 s3, ttmp7, s3
	v_and_b32_e32 v14, 0x3ff, v0
	s_add_co_i32 s4, s4, s3
	s_cmp_eq_u32 s2, 0
	v_mov_b64_e32 v[0:1], 0
	s_cselect_b32 s2, ttmp7, s4
	v_cmp_eq_u32_e64 s3, 0, v14
	v_lshl_add_u32 v6, s2, 4, v12
	s_cmp_ge_i32 s20, s11
	s_delay_alu instid0(VALU_DEP_1)
	v_ashrrev_i32_e32 v7, 31, v6
	v_cmp_gt_i32_e64 s2, s18, v6
	s_cbranch_scc1 .LBB14_17
; %bb.8:
	v_mul_u64_e32 v[0:1], s[8:9], v[6:7]
	s_clause 0x1
	s_load_b64 s[22:23], s[0:1], 0x38
	s_load_b128 s[12:15], s[0:1], 0x20
	v_dual_lshlrev_b32 v8, 2, v12 :: v_dual_lshlrev_b32 v10, 3, v14
	v_cmp_gt_u32_e32 vcc_lo, 4, v14
	v_cmp_gt_u32_e64 s4, 4, v12
	v_dual_mov_b32 v11, 0 :: v_dual_lshlrev_b32 v15, 5, v12
	s_delay_alu instid0(VALU_DEP_4)
	v_add_lshl_u32 v16, v8, v14, 3
	s_and_b32 s17, s2, vcc_lo
	s_and_b32 s18, s3, s4
	s_cmp_lg_u32 s16, 0x6f
	v_add_nc_u32_e32 v17, 0x200, v10
	s_cselect_b32 s16, -1, 0
	s_ashr_i32 s21, s20, 31
	v_add_nc_u32_e32 v18, 0x200, v16
	v_lshl_add_u32 v19, s20, 2, v12
	s_lshl_b64 s[4:5], s[20:21], 2
	s_wait_kmcnt 0x0
	v_lshl_add_u64 v[8:9], v[6:7], 3, s[22:23]
	s_add_nc_u64 s[4:5], s[12:13], s[4:5]
	v_lshl_add_u64 v[0:1], v[0:1], 3, s[22:23]
	s_delay_alu instid0(VALU_DEP_1)
	v_add_nc_u64_e32 v[10:11], v[0:1], v[10:11]
	v_mov_b64_e32 v[0:1], 0
	s_branch .LBB14_10
.LBB14_9:                               ;   in Loop: Header=BB14_10 Depth=1
	s_or_b32 exec_lo, exec_lo, s12
	s_wait_dscnt 0x0
	s_barrier_signal -1
	s_barrier_wait -1
	ds_load_2addr_b64 v[20:23], v17 offset1:4
	ds_load_b128 v[24:27], v15
	ds_load_b128 v[28:31], v15 offset:16
	v_add_nc_u32_e32 v19, 4, v19
	s_add_co_i32 s20, s20, 1
	s_add_nc_u64 s[4:5], s[4:5], 4
	s_cmp_ge_i32 s20, s11
	s_wait_dscnt 0x1
	v_fmac_f64_e32 v[0:1], v[20:21], v[24:25]
	s_delay_alu instid0(VALU_DEP_1)
	v_fmac_f64_e32 v[0:1], v[22:23], v[26:27]
	ds_load_2addr_b64 v[20:23], v17 offset0:8 offset1:12
	s_wait_dscnt 0x0
	s_barrier_signal -1
	s_barrier_wait -1
	v_fmac_f64_e32 v[0:1], v[20:21], v[28:29]
	s_delay_alu instid0(VALU_DEP_1)
	v_fmac_f64_e32 v[0:1], v[22:23], v[30:31]
	s_cbranch_scc1 .LBB14_17
.LBB14_10:                              ; =>This Inner Loop Header: Depth=1
	v_mov_b64_e32 v[12:13], 0
	s_and_saveexec_b32 s19, s17
	s_cbranch_execz .LBB14_15
; %bb.11:                               ;   in Loop: Header=BB14_10 Depth=1
	s_load_b32 s12, s[4:5], 0x0
	s_mov_b32 s13, -1
	s_and_b32 vcc_lo, exec_lo, s16
                                        ; implicit-def: $vgpr12_vgpr13
	s_wait_kmcnt 0x0
	s_sub_co_i32 s12, s12, s6
	s_delay_alu instid0(SALU_CYCLE_1)
	s_lshl_b32 s12, s12, 2
	s_cbranch_vccz .LBB14_13
; %bb.12:                               ;   in Loop: Header=BB14_10 Depth=1
	v_or_b32_e32 v12, s12, v14
	s_mov_b32 s13, 0
	s_delay_alu instid0(VALU_DEP_1) | instskip(NEXT) | instid1(VALU_DEP_1)
	v_ashrrev_i32_e32 v13, 31, v12
	v_mul_u64_e32 v[12:13], s[8:9], v[12:13]
	s_delay_alu instid0(VALU_DEP_1)
	v_lshl_add_u64 v[12:13], v[12:13], 3, v[8:9]
	global_load_b64 v[12:13], v[12:13], off
.LBB14_13:                              ;   in Loop: Header=BB14_10 Depth=1
	s_and_not1_b32 vcc_lo, exec_lo, s13
	s_cbranch_vccnz .LBB14_15
; %bb.14:                               ;   in Loop: Header=BB14_10 Depth=1
	s_ashr_i32 s13, s12, 31
	s_wait_loadcnt 0x0
	v_lshl_add_u64 v[12:13], s[12:13], 3, v[10:11]
	global_load_b64 v[12:13], v[12:13], off
.LBB14_15:                              ;   in Loop: Header=BB14_10 Depth=1
	s_wait_xcnt 0x0
	s_or_b32 exec_lo, exec_lo, s19
	s_wait_loadcnt 0x0
	ds_store_b64 v16, v[12:13]
	s_and_saveexec_b32 s12, s18
	s_cbranch_execz .LBB14_9
; %bb.16:                               ;   in Loop: Header=BB14_10 Depth=1
	global_load_b64 v[12:13], v19, s[14:15] scale_offset
	s_wait_loadcnt 0x0
	ds_store_b64 v18, v[12:13]
	s_branch .LBB14_9
.LBB14_17:
	s_load_b64 s[4:5], s[0:1], 0x50
	s_and_b32 s2, s3, s2
	s_delay_alu instid0(SALU_CYCLE_1) | instskip(NEXT) | instid1(SALU_CYCLE_1)
	s_and_b32 s2, s7, s2
	s_and_b32 exec_lo, exec_lo, s2
	s_cbranch_execz .LBB14_22
; %bb.18:
	s_wait_xcnt 0x0
	s_load_b64 s[0:1], s[0:1], 0x58
	s_delay_alu instid0(VALU_DEP_1) | instskip(NEXT) | instid1(VALU_DEP_1)
	v_dual_mul_f64 v[0:1], v[4:5], v[0:1] :: v_dual_add_nc_u32 v4, s10, v14
	v_ashrrev_i32_e32 v5, 31, v4
	s_wait_kmcnt 0x0
	v_mul_u64_e32 v[6:7], s[0:1], v[6:7]
	s_mov_b32 s0, exec_lo
	s_delay_alu instid0(VALU_DEP_1)
	v_lshl_add_u64 v[6:7], v[6:7], 3, s[4:5]
	v_cmpx_neq_f64_e32 0, v[2:3]
	s_xor_b32 s0, exec_lo, s0
	s_cbranch_execz .LBB14_20
; %bb.19:
	s_delay_alu instid0(VALU_DEP_2)
	v_lshl_add_u64 v[4:5], v[4:5], 3, v[6:7]
	global_load_b64 v[6:7], v[4:5], off
	s_wait_loadcnt 0x0
	v_fmac_f64_e32 v[0:1], v[2:3], v[6:7]
                                        ; implicit-def: $vgpr6_vgpr7
	global_store_b64 v[4:5], v[0:1], off
                                        ; implicit-def: $vgpr4
                                        ; implicit-def: $vgpr0_vgpr1
.LBB14_20:
	s_wait_xcnt 0x0
	s_and_not1_saveexec_b32 s0, s0
	s_cbranch_execz .LBB14_22
; %bb.21:
	v_lshl_add_u64 v[2:3], v[4:5], 3, v[6:7]
	global_store_b64 v[2:3], v[0:1], off
.LBB14_22:
	s_endpgm
	.section	.rodata,"a",@progbits
	.p2align	6, 0x0
	.amdhsa_kernel _ZN9rocsparseL29gebsrmm_small_blockdim_kernelILi1ELi4ELi4ELi16EdEEv20rocsparse_direction_20rocsparse_operation_iiNS_24const_host_device_scalarIT3_EEPKiS7_PKS4_iiS9_lS5_PS4_l21rocsparse_index_base_b
		.amdhsa_group_segment_fixed_size 640
		.amdhsa_private_segment_fixed_size 0
		.amdhsa_kernarg_size 104
		.amdhsa_user_sgpr_count 2
		.amdhsa_user_sgpr_dispatch_ptr 0
		.amdhsa_user_sgpr_queue_ptr 0
		.amdhsa_user_sgpr_kernarg_segment_ptr 1
		.amdhsa_user_sgpr_dispatch_id 0
		.amdhsa_user_sgpr_kernarg_preload_length 0
		.amdhsa_user_sgpr_kernarg_preload_offset 0
		.amdhsa_user_sgpr_private_segment_size 0
		.amdhsa_wavefront_size32 1
		.amdhsa_uses_dynamic_stack 0
		.amdhsa_enable_private_segment 0
		.amdhsa_system_sgpr_workgroup_id_x 1
		.amdhsa_system_sgpr_workgroup_id_y 1
		.amdhsa_system_sgpr_workgroup_id_z 0
		.amdhsa_system_sgpr_workgroup_info 0
		.amdhsa_system_vgpr_workitem_id 1
		.amdhsa_next_free_vgpr 32
		.amdhsa_next_free_sgpr 24
		.amdhsa_named_barrier_count 0
		.amdhsa_reserve_vcc 1
		.amdhsa_float_round_mode_32 0
		.amdhsa_float_round_mode_16_64 0
		.amdhsa_float_denorm_mode_32 3
		.amdhsa_float_denorm_mode_16_64 3
		.amdhsa_fp16_overflow 0
		.amdhsa_memory_ordered 1
		.amdhsa_forward_progress 1
		.amdhsa_inst_pref_size 8
		.amdhsa_round_robin_scheduling 0
		.amdhsa_exception_fp_ieee_invalid_op 0
		.amdhsa_exception_fp_denorm_src 0
		.amdhsa_exception_fp_ieee_div_zero 0
		.amdhsa_exception_fp_ieee_overflow 0
		.amdhsa_exception_fp_ieee_underflow 0
		.amdhsa_exception_fp_ieee_inexact 0
		.amdhsa_exception_int_div_zero 0
	.end_amdhsa_kernel
	.section	.text._ZN9rocsparseL29gebsrmm_small_blockdim_kernelILi1ELi4ELi4ELi16EdEEv20rocsparse_direction_20rocsparse_operation_iiNS_24const_host_device_scalarIT3_EEPKiS7_PKS4_iiS9_lS5_PS4_l21rocsparse_index_base_b,"axG",@progbits,_ZN9rocsparseL29gebsrmm_small_blockdim_kernelILi1ELi4ELi4ELi16EdEEv20rocsparse_direction_20rocsparse_operation_iiNS_24const_host_device_scalarIT3_EEPKiS7_PKS4_iiS9_lS5_PS4_l21rocsparse_index_base_b,comdat
.Lfunc_end14:
	.size	_ZN9rocsparseL29gebsrmm_small_blockdim_kernelILi1ELi4ELi4ELi16EdEEv20rocsparse_direction_20rocsparse_operation_iiNS_24const_host_device_scalarIT3_EEPKiS7_PKS4_iiS9_lS5_PS4_l21rocsparse_index_base_b, .Lfunc_end14-_ZN9rocsparseL29gebsrmm_small_blockdim_kernelILi1ELi4ELi4ELi16EdEEv20rocsparse_direction_20rocsparse_operation_iiNS_24const_host_device_scalarIT3_EEPKiS7_PKS4_iiS9_lS5_PS4_l21rocsparse_index_base_b
                                        ; -- End function
	.set _ZN9rocsparseL29gebsrmm_small_blockdim_kernelILi1ELi4ELi4ELi16EdEEv20rocsparse_direction_20rocsparse_operation_iiNS_24const_host_device_scalarIT3_EEPKiS7_PKS4_iiS9_lS5_PS4_l21rocsparse_index_base_b.num_vgpr, 32
	.set _ZN9rocsparseL29gebsrmm_small_blockdim_kernelILi1ELi4ELi4ELi16EdEEv20rocsparse_direction_20rocsparse_operation_iiNS_24const_host_device_scalarIT3_EEPKiS7_PKS4_iiS9_lS5_PS4_l21rocsparse_index_base_b.num_agpr, 0
	.set _ZN9rocsparseL29gebsrmm_small_blockdim_kernelILi1ELi4ELi4ELi16EdEEv20rocsparse_direction_20rocsparse_operation_iiNS_24const_host_device_scalarIT3_EEPKiS7_PKS4_iiS9_lS5_PS4_l21rocsparse_index_base_b.numbered_sgpr, 24
	.set _ZN9rocsparseL29gebsrmm_small_blockdim_kernelILi1ELi4ELi4ELi16EdEEv20rocsparse_direction_20rocsparse_operation_iiNS_24const_host_device_scalarIT3_EEPKiS7_PKS4_iiS9_lS5_PS4_l21rocsparse_index_base_b.num_named_barrier, 0
	.set _ZN9rocsparseL29gebsrmm_small_blockdim_kernelILi1ELi4ELi4ELi16EdEEv20rocsparse_direction_20rocsparse_operation_iiNS_24const_host_device_scalarIT3_EEPKiS7_PKS4_iiS9_lS5_PS4_l21rocsparse_index_base_b.private_seg_size, 0
	.set _ZN9rocsparseL29gebsrmm_small_blockdim_kernelILi1ELi4ELi4ELi16EdEEv20rocsparse_direction_20rocsparse_operation_iiNS_24const_host_device_scalarIT3_EEPKiS7_PKS4_iiS9_lS5_PS4_l21rocsparse_index_base_b.uses_vcc, 1
	.set _ZN9rocsparseL29gebsrmm_small_blockdim_kernelILi1ELi4ELi4ELi16EdEEv20rocsparse_direction_20rocsparse_operation_iiNS_24const_host_device_scalarIT3_EEPKiS7_PKS4_iiS9_lS5_PS4_l21rocsparse_index_base_b.uses_flat_scratch, 0
	.set _ZN9rocsparseL29gebsrmm_small_blockdim_kernelILi1ELi4ELi4ELi16EdEEv20rocsparse_direction_20rocsparse_operation_iiNS_24const_host_device_scalarIT3_EEPKiS7_PKS4_iiS9_lS5_PS4_l21rocsparse_index_base_b.has_dyn_sized_stack, 0
	.set _ZN9rocsparseL29gebsrmm_small_blockdim_kernelILi1ELi4ELi4ELi16EdEEv20rocsparse_direction_20rocsparse_operation_iiNS_24const_host_device_scalarIT3_EEPKiS7_PKS4_iiS9_lS5_PS4_l21rocsparse_index_base_b.has_recursion, 0
	.set _ZN9rocsparseL29gebsrmm_small_blockdim_kernelILi1ELi4ELi4ELi16EdEEv20rocsparse_direction_20rocsparse_operation_iiNS_24const_host_device_scalarIT3_EEPKiS7_PKS4_iiS9_lS5_PS4_l21rocsparse_index_base_b.has_indirect_call, 0
	.section	.AMDGPU.csdata,"",@progbits
; Kernel info:
; codeLenInByte = 988
; TotalNumSgprs: 26
; NumVgprs: 32
; ScratchSize: 0
; MemoryBound: 0
; FloatMode: 240
; IeeeMode: 1
; LDSByteSize: 640 bytes/workgroup (compile time only)
; SGPRBlocks: 0
; VGPRBlocks: 1
; NumSGPRsForWavesPerEU: 26
; NumVGPRsForWavesPerEU: 32
; NamedBarCnt: 0
; Occupancy: 16
; WaveLimiterHint : 1
; COMPUTE_PGM_RSRC2:SCRATCH_EN: 0
; COMPUTE_PGM_RSRC2:USER_SGPR: 2
; COMPUTE_PGM_RSRC2:TRAP_HANDLER: 0
; COMPUTE_PGM_RSRC2:TGID_X_EN: 1
; COMPUTE_PGM_RSRC2:TGID_Y_EN: 1
; COMPUTE_PGM_RSRC2:TGID_Z_EN: 0
; COMPUTE_PGM_RSRC2:TIDIG_COMP_CNT: 1
	.section	.text._ZN9rocsparseL29gebsrmm_small_blockdim_kernelILi2ELi1ELi2ELi16EdEEv20rocsparse_direction_20rocsparse_operation_iiNS_24const_host_device_scalarIT3_EEPKiS7_PKS4_iiS9_lS5_PS4_l21rocsparse_index_base_b,"axG",@progbits,_ZN9rocsparseL29gebsrmm_small_blockdim_kernelILi2ELi1ELi2ELi16EdEEv20rocsparse_direction_20rocsparse_operation_iiNS_24const_host_device_scalarIT3_EEPKiS7_PKS4_iiS9_lS5_PS4_l21rocsparse_index_base_b,comdat
	.globl	_ZN9rocsparseL29gebsrmm_small_blockdim_kernelILi2ELi1ELi2ELi16EdEEv20rocsparse_direction_20rocsparse_operation_iiNS_24const_host_device_scalarIT3_EEPKiS7_PKS4_iiS9_lS5_PS4_l21rocsparse_index_base_b ; -- Begin function _ZN9rocsparseL29gebsrmm_small_blockdim_kernelILi2ELi1ELi2ELi16EdEEv20rocsparse_direction_20rocsparse_operation_iiNS_24const_host_device_scalarIT3_EEPKiS7_PKS4_iiS9_lS5_PS4_l21rocsparse_index_base_b
	.p2align	8
	.type	_ZN9rocsparseL29gebsrmm_small_blockdim_kernelILi2ELi1ELi2ELi16EdEEv20rocsparse_direction_20rocsparse_operation_iiNS_24const_host_device_scalarIT3_EEPKiS7_PKS4_iiS9_lS5_PS4_l21rocsparse_index_base_b,@function
_ZN9rocsparseL29gebsrmm_small_blockdim_kernelILi2ELi1ELi2ELi16EdEEv20rocsparse_direction_20rocsparse_operation_iiNS_24const_host_device_scalarIT3_EEPKiS7_PKS4_iiS9_lS5_PS4_l21rocsparse_index_base_b: ; @_ZN9rocsparseL29gebsrmm_small_blockdim_kernelILi2ELi1ELi2ELi16EdEEv20rocsparse_direction_20rocsparse_operation_iiNS_24const_host_device_scalarIT3_EEPKiS7_PKS4_iiS9_lS5_PS4_l21rocsparse_index_base_b
; %bb.0:
	s_clause 0x2
	s_load_b64 s[6:7], s[0:1], 0x60
	s_load_b64 s[2:3], s[0:1], 0x10
	s_load_b128 s[8:11], s[0:1], 0x40
	s_wait_kmcnt 0x0
	s_bitcmp1_b32 s7, 0
	v_mov_b64_e32 v[4:5], s[2:3]
	s_cselect_b32 s4, -1, 0
	s_delay_alu instid0(SALU_CYCLE_1)
	s_and_b32 vcc_lo, exec_lo, s4
	s_xor_b32 s4, s4, -1
	s_cbranch_vccnz .LBB15_2
; %bb.1:
	v_mov_b32_e32 v1, 0
	flat_load_b64 v[4:5], v1, s[2:3]
.LBB15_2:
	v_mov_b64_e32 v[2:3], s[10:11]
	s_and_not1_b32 vcc_lo, exec_lo, s4
	s_cbranch_vccnz .LBB15_4
; %bb.3:
	s_wait_xcnt 0x0
	v_mov_b32_e32 v1, 0
	flat_load_b64 v[2:3], v1, s[10:11]
.LBB15_4:
	s_wait_loadcnt_dscnt 0x0
	v_cmp_neq_f64_e32 vcc_lo, 0, v[4:5]
	s_delay_alu instid0(VALU_DEP_2) | instskip(SKIP_1) | instid1(SALU_CYCLE_1)
	v_cmp_neq_f64_e64 s2, 1.0, v[2:3]
	s_or_b32 s2, vcc_lo, s2
	s_and_saveexec_b32 s3, s2
	s_cbranch_execz .LBB15_22
; %bb.5:
	s_load_b96 s[16:18], s[0:1], 0x4
	s_bfe_u32 s2, ttmp6, 0x4000c
	s_and_b32 s3, ttmp6, 15
	s_add_co_i32 s2, s2, 1
	s_mov_b32 s20, 0
	s_mul_i32 s4, ttmp9, s2
	s_getreg_b32 s2, hwreg(HW_REG_IB_STS2, 6, 4)
	s_add_co_i32 s3, s3, s4
	s_cmp_eq_u32 s2, 0
	s_mov_b32 s11, 0
	s_cselect_b32 s10, ttmp9, s3
	s_wait_kmcnt 0x0
	s_cmp_lt_i32 s10, s17
	s_cselect_b32 s7, -1, 0
	s_cmp_ge_i32 s10, s17
	s_cbranch_scc1 .LBB15_7
; %bb.6:
	s_load_b64 s[4:5], s[0:1], 0x18
	s_ashr_i32 s11, s10, 31
	s_delay_alu instid0(SALU_CYCLE_1)
	s_lshl_b64 s[12:13], s[10:11], 2
	s_wait_kmcnt 0x0
	s_add_nc_u64 s[4:5], s[4:5], s[12:13]
	s_load_b64 s[12:13], s[4:5], 0x0
	s_wait_kmcnt 0x0
	s_sub_co_i32 s20, s12, s6
	s_sub_co_i32 s11, s13, s6
.LBB15_7:
	s_bfe_u32 s3, ttmp6, 0x40010
	s_bfe_u32 s4, ttmp6, 0x40004
	s_add_co_i32 s3, s3, 1
	v_bfe_u32 v8, v0, 10, 10
	s_mul_i32 s3, ttmp7, s3
	v_and_b32_e32 v14, 0x3ff, v0
	s_add_co_i32 s4, s4, s3
	s_cmp_eq_u32 s2, 0
	v_mov_b64_e32 v[0:1], 0
	s_cselect_b32 s2, ttmp7, s4
	v_cmp_gt_u32_e64 s3, 2, v14
	v_lshl_add_u32 v6, s2, 4, v8
	s_cmp_ge_i32 s20, s11
	s_delay_alu instid0(VALU_DEP_1)
	v_ashrrev_i32_e32 v7, 31, v6
	v_cmp_gt_i32_e64 s2, s18, v6
	s_cbranch_scc1 .LBB15_17
; %bb.8:
	v_mul_u64_e32 v[10:11], s[8:9], v[6:7]
	s_clause 0x1
	s_load_b64 s[22:23], s[0:1], 0x38
	s_load_b128 s[12:15], s[0:1], 0x20
	v_dual_lshlrev_b32 v0, 1, v8 :: v_dual_lshlrev_b32 v16, 4, v8
	v_cmp_eq_u32_e32 vcc_lo, 0, v14
	v_cmp_eq_u32_e64 s4, 0, v8
	v_lshl_add_u32 v15, v14, 3, 0x100
	s_delay_alu instid0(VALU_DEP_4)
	v_add_lshl_u32 v17, v0, v14, 3
	v_mov_b64_e32 v[0:1], 0
	s_and_b32 s17, vcc_lo, s2
	s_and_b32 s18, s3, s4
	s_cmp_lg_u32 s16, 0x6f
	v_add_nc_u32_e32 v18, 0x100, v17
	s_cselect_b32 s16, -1, 0
	s_ashr_i32 s21, s20, 31
	v_lshl_add_u32 v19, s20, 1, v14
	s_lshl_b64 s[4:5], s[20:21], 2
	s_wait_kmcnt 0x0
	v_lshl_add_u64 v[8:9], v[6:7], 3, s[22:23]
	s_add_nc_u64 s[4:5], s[12:13], s[4:5]
	v_lshl_add_u64 v[10:11], v[10:11], 3, s[22:23]
	s_branch .LBB15_10
.LBB15_9:                               ;   in Loop: Header=BB15_10 Depth=1
	s_or_b32 exec_lo, exec_lo, s12
	s_wait_dscnt 0x0
	; wave barrier
	ds_load_b64 v[12:13], v15
	ds_load_b64 v[20:21], v16
	v_add_nc_u32_e32 v19, 2, v19
	s_add_co_i32 s20, s20, 1
	s_add_nc_u64 s[4:5], s[4:5], 4
	s_cmp_ge_i32 s20, s11
	s_wait_dscnt 0x0
	; wave barrier
	v_fmac_f64_e32 v[0:1], v[12:13], v[20:21]
	s_cbranch_scc1 .LBB15_17
.LBB15_10:                              ; =>This Inner Loop Header: Depth=1
	v_mov_b64_e32 v[12:13], 0
	s_and_saveexec_b32 s19, s17
	s_cbranch_execz .LBB15_15
; %bb.11:                               ;   in Loop: Header=BB15_10 Depth=1
	s_load_b32 s12, s[4:5], 0x0
	s_mov_b32 s21, -1
	s_and_b32 vcc_lo, exec_lo, s16
                                        ; implicit-def: $vgpr12_vgpr13
	s_wait_kmcnt 0x0
	s_sub_co_i32 s12, s12, s6
	s_delay_alu instid0(SALU_CYCLE_1)
	s_ashr_i32 s13, s12, 31
	s_cbranch_vccz .LBB15_13
; %bb.12:                               ;   in Loop: Header=BB15_10 Depth=1
	s_mul_u64 s[22:23], s[8:9], s[12:13]
	s_mov_b32 s21, 0
	v_lshl_add_u64 v[12:13], s[22:23], 3, v[8:9]
	global_load_b64 v[12:13], v[12:13], off
.LBB15_13:                              ;   in Loop: Header=BB15_10 Depth=1
	s_and_not1_b32 vcc_lo, exec_lo, s21
	s_cbranch_vccnz .LBB15_15
; %bb.14:                               ;   in Loop: Header=BB15_10 Depth=1
	s_wait_loadcnt 0x0
	v_lshl_add_u64 v[12:13], s[12:13], 3, v[10:11]
	global_load_b64 v[12:13], v[12:13], off
.LBB15_15:                              ;   in Loop: Header=BB15_10 Depth=1
	s_wait_xcnt 0x0
	s_or_b32 exec_lo, exec_lo, s19
	s_wait_loadcnt 0x0
	ds_store_b64 v17, v[12:13]
	s_and_saveexec_b32 s12, s18
	s_cbranch_execz .LBB15_9
; %bb.16:                               ;   in Loop: Header=BB15_10 Depth=1
	global_load_b64 v[12:13], v19, s[14:15] scale_offset
	s_wait_loadcnt 0x0
	ds_store_b64 v18, v[12:13]
	s_branch .LBB15_9
.LBB15_17:
	s_load_b64 s[4:5], s[0:1], 0x50
	s_and_b32 s2, s7, s2
	s_delay_alu instid0(SALU_CYCLE_1) | instskip(NEXT) | instid1(SALU_CYCLE_1)
	s_and_b32 s2, s2, s3
	s_and_b32 exec_lo, exec_lo, s2
	s_cbranch_execz .LBB15_22
; %bb.18:
	s_wait_xcnt 0x0
	s_load_b64 s[0:1], s[0:1], 0x58
	s_delay_alu instid0(VALU_DEP_1) | instskip(SKIP_1) | instid1(VALU_DEP_1)
	v_mul_f64_e32 v[0:1], v[4:5], v[0:1]
	v_lshl_add_u32 v4, s10, 1, v14
	v_ashrrev_i32_e32 v5, 31, v4
	s_wait_kmcnt 0x0
	v_mul_u64_e32 v[6:7], s[0:1], v[6:7]
	s_mov_b32 s0, exec_lo
	s_delay_alu instid0(VALU_DEP_1)
	v_lshl_add_u64 v[6:7], v[6:7], 3, s[4:5]
	v_cmpx_neq_f64_e32 0, v[2:3]
	s_xor_b32 s0, exec_lo, s0
	s_cbranch_execz .LBB15_20
; %bb.19:
	s_delay_alu instid0(VALU_DEP_2)
	v_lshl_add_u64 v[4:5], v[4:5], 3, v[6:7]
	global_load_b64 v[6:7], v[4:5], off
	s_wait_loadcnt 0x0
	v_fmac_f64_e32 v[0:1], v[2:3], v[6:7]
                                        ; implicit-def: $vgpr6_vgpr7
	global_store_b64 v[4:5], v[0:1], off
                                        ; implicit-def: $vgpr4
                                        ; implicit-def: $vgpr0_vgpr1
.LBB15_20:
	s_wait_xcnt 0x0
	s_and_not1_saveexec_b32 s0, s0
	s_cbranch_execz .LBB15_22
; %bb.21:
	v_lshl_add_u64 v[2:3], v[4:5], 3, v[6:7]
	global_store_b64 v[2:3], v[0:1], off
.LBB15_22:
	s_endpgm
	.section	.rodata,"a",@progbits
	.p2align	6, 0x0
	.amdhsa_kernel _ZN9rocsparseL29gebsrmm_small_blockdim_kernelILi2ELi1ELi2ELi16EdEEv20rocsparse_direction_20rocsparse_operation_iiNS_24const_host_device_scalarIT3_EEPKiS7_PKS4_iiS9_lS5_PS4_l21rocsparse_index_base_b
		.amdhsa_group_segment_fixed_size 288
		.amdhsa_private_segment_fixed_size 0
		.amdhsa_kernarg_size 104
		.amdhsa_user_sgpr_count 2
		.amdhsa_user_sgpr_dispatch_ptr 0
		.amdhsa_user_sgpr_queue_ptr 0
		.amdhsa_user_sgpr_kernarg_segment_ptr 1
		.amdhsa_user_sgpr_dispatch_id 0
		.amdhsa_user_sgpr_kernarg_preload_length 0
		.amdhsa_user_sgpr_kernarg_preload_offset 0
		.amdhsa_user_sgpr_private_segment_size 0
		.amdhsa_wavefront_size32 1
		.amdhsa_uses_dynamic_stack 0
		.amdhsa_enable_private_segment 0
		.amdhsa_system_sgpr_workgroup_id_x 1
		.amdhsa_system_sgpr_workgroup_id_y 1
		.amdhsa_system_sgpr_workgroup_id_z 0
		.amdhsa_system_sgpr_workgroup_info 0
		.amdhsa_system_vgpr_workitem_id 1
		.amdhsa_next_free_vgpr 22
		.amdhsa_next_free_sgpr 24
		.amdhsa_named_barrier_count 0
		.amdhsa_reserve_vcc 1
		.amdhsa_float_round_mode_32 0
		.amdhsa_float_round_mode_16_64 0
		.amdhsa_float_denorm_mode_32 3
		.amdhsa_float_denorm_mode_16_64 3
		.amdhsa_fp16_overflow 0
		.amdhsa_memory_ordered 1
		.amdhsa_forward_progress 1
		.amdhsa_inst_pref_size 7
		.amdhsa_round_robin_scheduling 0
		.amdhsa_exception_fp_ieee_invalid_op 0
		.amdhsa_exception_fp_denorm_src 0
		.amdhsa_exception_fp_ieee_div_zero 0
		.amdhsa_exception_fp_ieee_overflow 0
		.amdhsa_exception_fp_ieee_underflow 0
		.amdhsa_exception_fp_ieee_inexact 0
		.amdhsa_exception_int_div_zero 0
	.end_amdhsa_kernel
	.section	.text._ZN9rocsparseL29gebsrmm_small_blockdim_kernelILi2ELi1ELi2ELi16EdEEv20rocsparse_direction_20rocsparse_operation_iiNS_24const_host_device_scalarIT3_EEPKiS7_PKS4_iiS9_lS5_PS4_l21rocsparse_index_base_b,"axG",@progbits,_ZN9rocsparseL29gebsrmm_small_blockdim_kernelILi2ELi1ELi2ELi16EdEEv20rocsparse_direction_20rocsparse_operation_iiNS_24const_host_device_scalarIT3_EEPKiS7_PKS4_iiS9_lS5_PS4_l21rocsparse_index_base_b,comdat
.Lfunc_end15:
	.size	_ZN9rocsparseL29gebsrmm_small_blockdim_kernelILi2ELi1ELi2ELi16EdEEv20rocsparse_direction_20rocsparse_operation_iiNS_24const_host_device_scalarIT3_EEPKiS7_PKS4_iiS9_lS5_PS4_l21rocsparse_index_base_b, .Lfunc_end15-_ZN9rocsparseL29gebsrmm_small_blockdim_kernelILi2ELi1ELi2ELi16EdEEv20rocsparse_direction_20rocsparse_operation_iiNS_24const_host_device_scalarIT3_EEPKiS7_PKS4_iiS9_lS5_PS4_l21rocsparse_index_base_b
                                        ; -- End function
	.set _ZN9rocsparseL29gebsrmm_small_blockdim_kernelILi2ELi1ELi2ELi16EdEEv20rocsparse_direction_20rocsparse_operation_iiNS_24const_host_device_scalarIT3_EEPKiS7_PKS4_iiS9_lS5_PS4_l21rocsparse_index_base_b.num_vgpr, 22
	.set _ZN9rocsparseL29gebsrmm_small_blockdim_kernelILi2ELi1ELi2ELi16EdEEv20rocsparse_direction_20rocsparse_operation_iiNS_24const_host_device_scalarIT3_EEPKiS7_PKS4_iiS9_lS5_PS4_l21rocsparse_index_base_b.num_agpr, 0
	.set _ZN9rocsparseL29gebsrmm_small_blockdim_kernelILi2ELi1ELi2ELi16EdEEv20rocsparse_direction_20rocsparse_operation_iiNS_24const_host_device_scalarIT3_EEPKiS7_PKS4_iiS9_lS5_PS4_l21rocsparse_index_base_b.numbered_sgpr, 24
	.set _ZN9rocsparseL29gebsrmm_small_blockdim_kernelILi2ELi1ELi2ELi16EdEEv20rocsparse_direction_20rocsparse_operation_iiNS_24const_host_device_scalarIT3_EEPKiS7_PKS4_iiS9_lS5_PS4_l21rocsparse_index_base_b.num_named_barrier, 0
	.set _ZN9rocsparseL29gebsrmm_small_blockdim_kernelILi2ELi1ELi2ELi16EdEEv20rocsparse_direction_20rocsparse_operation_iiNS_24const_host_device_scalarIT3_EEPKiS7_PKS4_iiS9_lS5_PS4_l21rocsparse_index_base_b.private_seg_size, 0
	.set _ZN9rocsparseL29gebsrmm_small_blockdim_kernelILi2ELi1ELi2ELi16EdEEv20rocsparse_direction_20rocsparse_operation_iiNS_24const_host_device_scalarIT3_EEPKiS7_PKS4_iiS9_lS5_PS4_l21rocsparse_index_base_b.uses_vcc, 1
	.set _ZN9rocsparseL29gebsrmm_small_blockdim_kernelILi2ELi1ELi2ELi16EdEEv20rocsparse_direction_20rocsparse_operation_iiNS_24const_host_device_scalarIT3_EEPKiS7_PKS4_iiS9_lS5_PS4_l21rocsparse_index_base_b.uses_flat_scratch, 0
	.set _ZN9rocsparseL29gebsrmm_small_blockdim_kernelILi2ELi1ELi2ELi16EdEEv20rocsparse_direction_20rocsparse_operation_iiNS_24const_host_device_scalarIT3_EEPKiS7_PKS4_iiS9_lS5_PS4_l21rocsparse_index_base_b.has_dyn_sized_stack, 0
	.set _ZN9rocsparseL29gebsrmm_small_blockdim_kernelILi2ELi1ELi2ELi16EdEEv20rocsparse_direction_20rocsparse_operation_iiNS_24const_host_device_scalarIT3_EEPKiS7_PKS4_iiS9_lS5_PS4_l21rocsparse_index_base_b.has_recursion, 0
	.set _ZN9rocsparseL29gebsrmm_small_blockdim_kernelILi2ELi1ELi2ELi16EdEEv20rocsparse_direction_20rocsparse_operation_iiNS_24const_host_device_scalarIT3_EEPKiS7_PKS4_iiS9_lS5_PS4_l21rocsparse_index_base_b.has_indirect_call, 0
	.section	.AMDGPU.csdata,"",@progbits
; Kernel info:
; codeLenInByte = 896
; TotalNumSgprs: 26
; NumVgprs: 22
; ScratchSize: 0
; MemoryBound: 0
; FloatMode: 240
; IeeeMode: 1
; LDSByteSize: 288 bytes/workgroup (compile time only)
; SGPRBlocks: 0
; VGPRBlocks: 1
; NumSGPRsForWavesPerEU: 26
; NumVGPRsForWavesPerEU: 22
; NamedBarCnt: 0
; Occupancy: 16
; WaveLimiterHint : 1
; COMPUTE_PGM_RSRC2:SCRATCH_EN: 0
; COMPUTE_PGM_RSRC2:USER_SGPR: 2
; COMPUTE_PGM_RSRC2:TRAP_HANDLER: 0
; COMPUTE_PGM_RSRC2:TGID_X_EN: 1
; COMPUTE_PGM_RSRC2:TGID_Y_EN: 1
; COMPUTE_PGM_RSRC2:TGID_Z_EN: 0
; COMPUTE_PGM_RSRC2:TIDIG_COMP_CNT: 1
	.section	.text._ZN9rocsparseL29gebsrmm_small_blockdim_kernelILi2ELi3ELi3ELi16EdEEv20rocsparse_direction_20rocsparse_operation_iiNS_24const_host_device_scalarIT3_EEPKiS7_PKS4_iiS9_lS5_PS4_l21rocsparse_index_base_b,"axG",@progbits,_ZN9rocsparseL29gebsrmm_small_blockdim_kernelILi2ELi3ELi3ELi16EdEEv20rocsparse_direction_20rocsparse_operation_iiNS_24const_host_device_scalarIT3_EEPKiS7_PKS4_iiS9_lS5_PS4_l21rocsparse_index_base_b,comdat
	.globl	_ZN9rocsparseL29gebsrmm_small_blockdim_kernelILi2ELi3ELi3ELi16EdEEv20rocsparse_direction_20rocsparse_operation_iiNS_24const_host_device_scalarIT3_EEPKiS7_PKS4_iiS9_lS5_PS4_l21rocsparse_index_base_b ; -- Begin function _ZN9rocsparseL29gebsrmm_small_blockdim_kernelILi2ELi3ELi3ELi16EdEEv20rocsparse_direction_20rocsparse_operation_iiNS_24const_host_device_scalarIT3_EEPKiS7_PKS4_iiS9_lS5_PS4_l21rocsparse_index_base_b
	.p2align	8
	.type	_ZN9rocsparseL29gebsrmm_small_blockdim_kernelILi2ELi3ELi3ELi16EdEEv20rocsparse_direction_20rocsparse_operation_iiNS_24const_host_device_scalarIT3_EEPKiS7_PKS4_iiS9_lS5_PS4_l21rocsparse_index_base_b,@function
_ZN9rocsparseL29gebsrmm_small_blockdim_kernelILi2ELi3ELi3ELi16EdEEv20rocsparse_direction_20rocsparse_operation_iiNS_24const_host_device_scalarIT3_EEPKiS7_PKS4_iiS9_lS5_PS4_l21rocsparse_index_base_b: ; @_ZN9rocsparseL29gebsrmm_small_blockdim_kernelILi2ELi3ELi3ELi16EdEEv20rocsparse_direction_20rocsparse_operation_iiNS_24const_host_device_scalarIT3_EEPKiS7_PKS4_iiS9_lS5_PS4_l21rocsparse_index_base_b
; %bb.0:
	s_clause 0x2
	s_load_b64 s[6:7], s[0:1], 0x60
	s_load_b64 s[2:3], s[0:1], 0x10
	s_load_b128 s[8:11], s[0:1], 0x40
	s_wait_kmcnt 0x0
	s_bitcmp1_b32 s7, 0
	v_mov_b64_e32 v[4:5], s[2:3]
	s_cselect_b32 s4, -1, 0
	s_delay_alu instid0(SALU_CYCLE_1)
	s_and_b32 vcc_lo, exec_lo, s4
	s_xor_b32 s4, s4, -1
	s_cbranch_vccnz .LBB16_2
; %bb.1:
	v_mov_b32_e32 v1, 0
	flat_load_b64 v[4:5], v1, s[2:3]
.LBB16_2:
	v_mov_b64_e32 v[2:3], s[10:11]
	s_and_not1_b32 vcc_lo, exec_lo, s4
	s_cbranch_vccnz .LBB16_4
; %bb.3:
	s_wait_xcnt 0x0
	v_mov_b32_e32 v1, 0
	flat_load_b64 v[2:3], v1, s[10:11]
.LBB16_4:
	s_wait_loadcnt_dscnt 0x0
	v_cmp_neq_f64_e32 vcc_lo, 0, v[4:5]
	s_delay_alu instid0(VALU_DEP_2) | instskip(SKIP_1) | instid1(SALU_CYCLE_1)
	v_cmp_neq_f64_e64 s2, 1.0, v[2:3]
	s_or_b32 s2, vcc_lo, s2
	s_and_saveexec_b32 s3, s2
	s_cbranch_execz .LBB16_22
; %bb.5:
	s_load_b128 s[16:19], s[0:1], 0x0
	s_bfe_u32 s2, ttmp6, 0x4000c
	s_and_b32 s3, ttmp6, 15
	s_add_co_i32 s2, s2, 1
	s_mov_b32 s20, 0
	s_mul_i32 s4, ttmp9, s2
	s_getreg_b32 s2, hwreg(HW_REG_IB_STS2, 6, 4)
	s_add_co_i32 s3, s3, s4
	s_cmp_eq_u32 s2, 0
	s_mov_b32 s11, 0
	s_cselect_b32 s10, ttmp9, s3
	s_wait_kmcnt 0x0
	s_cmp_lt_i32 s10, s18
	s_cselect_b32 s7, -1, 0
	s_cmp_ge_i32 s10, s18
	s_cbranch_scc1 .LBB16_7
; %bb.6:
	s_load_b64 s[4:5], s[0:1], 0x18
	s_ashr_i32 s11, s10, 31
	s_delay_alu instid0(SALU_CYCLE_1)
	s_lshl_b64 s[12:13], s[10:11], 2
	s_wait_kmcnt 0x0
	s_add_nc_u64 s[4:5], s[4:5], s[12:13]
	s_load_b64 s[12:13], s[4:5], 0x0
	s_wait_kmcnt 0x0
	s_sub_co_i32 s20, s12, s6
	s_sub_co_i32 s11, s13, s6
.LBB16_7:
	s_bfe_u32 s3, ttmp6, 0x40010
	s_bfe_u32 s4, ttmp6, 0x40004
	s_add_co_i32 s3, s3, 1
	v_bfe_u32 v8, v0, 10, 10
	s_mul_i32 s3, ttmp7, s3
	v_and_b32_e32 v14, 0x3ff, v0
	s_add_co_i32 s4, s4, s3
	s_cmp_eq_u32 s2, 0
	v_mov_b64_e32 v[0:1], 0
	s_cselect_b32 s2, ttmp7, s4
	v_cmp_gt_u32_e64 s3, 2, v14
	v_lshl_add_u32 v6, s2, 4, v8
	s_cmp_ge_i32 s20, s11
	s_delay_alu instid0(VALU_DEP_1)
	v_ashrrev_i32_e32 v7, 31, v6
	v_cmp_gt_i32_e64 s2, s19, v6
	s_cbranch_scc1 .LBB16_17
; %bb.8:
	v_mul_u64_e32 v[0:1], s[8:9], v[6:7]
	s_clause 0x1
	s_load_b64 s[22:23], s[0:1], 0x38
	s_load_b128 s[12:15], s[0:1], 0x20
	v_cmp_gt_u32_e32 vcc_lo, 3, v14
	v_cmp_gt_u32_e64 s4, 3, v8
	v_mad_u32_u24 v9, v8, 3, v14
	v_mul_u32_u24_e32 v12, 3, v8
	v_mad_u32_u24 v11, v14, 3, v8
	s_and_b32 s18, s2, vcc_lo
	s_and_b32 s19, s3, s4
	s_cmp_lg_u32 s17, 0x6f
	v_dual_sub_nc_u32 v8, v9, v8 :: v_dual_lshlrev_b32 v10, 3, v14
	s_cselect_b32 s17, -1, 0
	s_cmp_eq_u32 s16, 0
	v_lshlrev_b32_e32 v15, 3, v9
	s_cselect_b32 vcc_lo, -1, 0
	v_add_nc_u32_e32 v16, 0x180, v10
	v_dual_cndmask_b32 v8, v8, v11 :: v_dual_mov_b32 v11, 0
	s_ashr_i32 s21, s20, 31
	v_add_nc_u32_e32 v18, 0x180, v15
	v_lshlrev_b32_e32 v19, 3, v12
	s_delay_alu instid0(VALU_DEP_3) | instskip(SKIP_3) | instid1(SALU_CYCLE_1)
	v_mad_u32 v17, s20, 6, v8
	s_wait_kmcnt 0x0
	v_lshl_add_u64 v[8:9], v[6:7], 3, s[22:23]
	s_lshl_b64 s[4:5], s[20:21], 2
	s_add_nc_u64 s[4:5], s[12:13], s[4:5]
	v_lshl_add_u64 v[0:1], v[0:1], 3, s[22:23]
	s_delay_alu instid0(VALU_DEP_1)
	v_add_nc_u64_e32 v[10:11], v[0:1], v[10:11]
	v_mov_b64_e32 v[0:1], 0
	s_branch .LBB16_10
.LBB16_9:                               ;   in Loop: Header=BB16_10 Depth=1
	s_or_b32 exec_lo, exec_lo, s12
	s_wait_dscnt 0x0
	s_barrier_signal -1
	s_barrier_wait -1
	ds_load_2addr_b64 v[20:23], v16 offset1:3
	ds_load_2addr_b64 v[24:27], v19 offset1:1
	ds_load_b64 v[12:13], v16 offset:48
	v_add_nc_u32_e32 v17, 6, v17
	s_add_co_i32 s20, s20, 1
	s_add_nc_u64 s[4:5], s[4:5], 4
	s_cmp_ge_i32 s20, s11
	s_wait_dscnt 0x1
	v_fmac_f64_e32 v[0:1], v[20:21], v[24:25]
	ds_load_b64 v[20:21], v19 offset:16
	s_wait_dscnt 0x0
	s_barrier_signal -1
	s_barrier_wait -1
	v_fmac_f64_e32 v[0:1], v[22:23], v[26:27]
	s_delay_alu instid0(VALU_DEP_1)
	v_fmac_f64_e32 v[0:1], v[12:13], v[20:21]
	s_cbranch_scc1 .LBB16_17
.LBB16_10:                              ; =>This Inner Loop Header: Depth=1
	v_mov_b64_e32 v[12:13], 0
	s_and_saveexec_b32 s16, s18
	s_cbranch_execz .LBB16_15
; %bb.11:                               ;   in Loop: Header=BB16_10 Depth=1
	s_load_b32 s12, s[4:5], 0x0
	s_mov_b32 s13, -1
	s_and_b32 vcc_lo, exec_lo, s17
                                        ; implicit-def: $vgpr12_vgpr13
	s_wait_kmcnt 0x0
	s_sub_co_i32 s12, s12, s6
	s_delay_alu instid0(SALU_CYCLE_1)
	s_mul_i32 s12, s12, 3
	s_cbranch_vccz .LBB16_13
; %bb.12:                               ;   in Loop: Header=BB16_10 Depth=1
	v_add_nc_u32_e32 v12, s12, v14
	s_mov_b32 s13, 0
	s_delay_alu instid0(VALU_DEP_1) | instskip(NEXT) | instid1(VALU_DEP_1)
	v_ashrrev_i32_e32 v13, 31, v12
	v_mul_u64_e32 v[12:13], s[8:9], v[12:13]
	s_delay_alu instid0(VALU_DEP_1)
	v_lshl_add_u64 v[12:13], v[12:13], 3, v[8:9]
	global_load_b64 v[12:13], v[12:13], off
.LBB16_13:                              ;   in Loop: Header=BB16_10 Depth=1
	s_and_not1_b32 vcc_lo, exec_lo, s13
	s_cbranch_vccnz .LBB16_15
; %bb.14:                               ;   in Loop: Header=BB16_10 Depth=1
	s_ashr_i32 s13, s12, 31
	s_wait_loadcnt 0x0
	v_lshl_add_u64 v[12:13], s[12:13], 3, v[10:11]
	global_load_b64 v[12:13], v[12:13], off
.LBB16_15:                              ;   in Loop: Header=BB16_10 Depth=1
	s_wait_xcnt 0x0
	s_or_b32 exec_lo, exec_lo, s16
	s_wait_loadcnt 0x0
	ds_store_b64 v15, v[12:13]
	s_and_saveexec_b32 s12, s19
	s_cbranch_execz .LBB16_9
; %bb.16:                               ;   in Loop: Header=BB16_10 Depth=1
	global_load_b64 v[12:13], v17, s[14:15] scale_offset
	s_wait_loadcnt 0x0
	ds_store_b64 v18, v[12:13]
	s_branch .LBB16_9
.LBB16_17:
	s_load_b64 s[4:5], s[0:1], 0x50
	s_and_b32 s2, s7, s2
	s_delay_alu instid0(SALU_CYCLE_1) | instskip(NEXT) | instid1(SALU_CYCLE_1)
	s_and_b32 s2, s2, s3
	s_and_b32 exec_lo, exec_lo, s2
	s_cbranch_execz .LBB16_22
; %bb.18:
	s_wait_xcnt 0x0
	s_load_b64 s[0:1], s[0:1], 0x58
	s_delay_alu instid0(VALU_DEP_1) | instskip(SKIP_1) | instid1(VALU_DEP_1)
	v_mul_f64_e32 v[0:1], v[4:5], v[0:1]
	v_lshl_add_u32 v4, s10, 1, v14
	v_ashrrev_i32_e32 v5, 31, v4
	s_wait_kmcnt 0x0
	v_mul_u64_e32 v[6:7], s[0:1], v[6:7]
	s_mov_b32 s0, exec_lo
	s_delay_alu instid0(VALU_DEP_1)
	v_lshl_add_u64 v[6:7], v[6:7], 3, s[4:5]
	v_cmpx_neq_f64_e32 0, v[2:3]
	s_xor_b32 s0, exec_lo, s0
	s_cbranch_execz .LBB16_20
; %bb.19:
	s_delay_alu instid0(VALU_DEP_2)
	v_lshl_add_u64 v[4:5], v[4:5], 3, v[6:7]
	global_load_b64 v[6:7], v[4:5], off
	s_wait_loadcnt 0x0
	v_fmac_f64_e32 v[0:1], v[2:3], v[6:7]
                                        ; implicit-def: $vgpr6_vgpr7
	global_store_b64 v[4:5], v[0:1], off
                                        ; implicit-def: $vgpr4
                                        ; implicit-def: $vgpr0_vgpr1
.LBB16_20:
	s_wait_xcnt 0x0
	s_and_not1_saveexec_b32 s0, s0
	s_cbranch_execz .LBB16_22
; %bb.21:
	v_lshl_add_u64 v[2:3], v[4:5], 3, v[6:7]
	global_store_b64 v[2:3], v[0:1], off
.LBB16_22:
	s_endpgm
	.section	.rodata,"a",@progbits
	.p2align	6, 0x0
	.amdhsa_kernel _ZN9rocsparseL29gebsrmm_small_blockdim_kernelILi2ELi3ELi3ELi16EdEEv20rocsparse_direction_20rocsparse_operation_iiNS_24const_host_device_scalarIT3_EEPKiS7_PKS4_iiS9_lS5_PS4_l21rocsparse_index_base_b
		.amdhsa_group_segment_fixed_size 456
		.amdhsa_private_segment_fixed_size 0
		.amdhsa_kernarg_size 104
		.amdhsa_user_sgpr_count 2
		.amdhsa_user_sgpr_dispatch_ptr 0
		.amdhsa_user_sgpr_queue_ptr 0
		.amdhsa_user_sgpr_kernarg_segment_ptr 1
		.amdhsa_user_sgpr_dispatch_id 0
		.amdhsa_user_sgpr_kernarg_preload_length 0
		.amdhsa_user_sgpr_kernarg_preload_offset 0
		.amdhsa_user_sgpr_private_segment_size 0
		.amdhsa_wavefront_size32 1
		.amdhsa_uses_dynamic_stack 0
		.amdhsa_enable_private_segment 0
		.amdhsa_system_sgpr_workgroup_id_x 1
		.amdhsa_system_sgpr_workgroup_id_y 1
		.amdhsa_system_sgpr_workgroup_id_z 0
		.amdhsa_system_sgpr_workgroup_info 0
		.amdhsa_system_vgpr_workitem_id 1
		.amdhsa_next_free_vgpr 28
		.amdhsa_next_free_sgpr 24
		.amdhsa_named_barrier_count 0
		.amdhsa_reserve_vcc 1
		.amdhsa_float_round_mode_32 0
		.amdhsa_float_round_mode_16_64 0
		.amdhsa_float_denorm_mode_32 3
		.amdhsa_float_denorm_mode_16_64 3
		.amdhsa_fp16_overflow 0
		.amdhsa_memory_ordered 1
		.amdhsa_forward_progress 1
		.amdhsa_inst_pref_size 8
		.amdhsa_round_robin_scheduling 0
		.amdhsa_exception_fp_ieee_invalid_op 0
		.amdhsa_exception_fp_denorm_src 0
		.amdhsa_exception_fp_ieee_div_zero 0
		.amdhsa_exception_fp_ieee_overflow 0
		.amdhsa_exception_fp_ieee_underflow 0
		.amdhsa_exception_fp_ieee_inexact 0
		.amdhsa_exception_int_div_zero 0
	.end_amdhsa_kernel
	.section	.text._ZN9rocsparseL29gebsrmm_small_blockdim_kernelILi2ELi3ELi3ELi16EdEEv20rocsparse_direction_20rocsparse_operation_iiNS_24const_host_device_scalarIT3_EEPKiS7_PKS4_iiS9_lS5_PS4_l21rocsparse_index_base_b,"axG",@progbits,_ZN9rocsparseL29gebsrmm_small_blockdim_kernelILi2ELi3ELi3ELi16EdEEv20rocsparse_direction_20rocsparse_operation_iiNS_24const_host_device_scalarIT3_EEPKiS7_PKS4_iiS9_lS5_PS4_l21rocsparse_index_base_b,comdat
.Lfunc_end16:
	.size	_ZN9rocsparseL29gebsrmm_small_blockdim_kernelILi2ELi3ELi3ELi16EdEEv20rocsparse_direction_20rocsparse_operation_iiNS_24const_host_device_scalarIT3_EEPKiS7_PKS4_iiS9_lS5_PS4_l21rocsparse_index_base_b, .Lfunc_end16-_ZN9rocsparseL29gebsrmm_small_blockdim_kernelILi2ELi3ELi3ELi16EdEEv20rocsparse_direction_20rocsparse_operation_iiNS_24const_host_device_scalarIT3_EEPKiS7_PKS4_iiS9_lS5_PS4_l21rocsparse_index_base_b
                                        ; -- End function
	.set _ZN9rocsparseL29gebsrmm_small_blockdim_kernelILi2ELi3ELi3ELi16EdEEv20rocsparse_direction_20rocsparse_operation_iiNS_24const_host_device_scalarIT3_EEPKiS7_PKS4_iiS9_lS5_PS4_l21rocsparse_index_base_b.num_vgpr, 28
	.set _ZN9rocsparseL29gebsrmm_small_blockdim_kernelILi2ELi3ELi3ELi16EdEEv20rocsparse_direction_20rocsparse_operation_iiNS_24const_host_device_scalarIT3_EEPKiS7_PKS4_iiS9_lS5_PS4_l21rocsparse_index_base_b.num_agpr, 0
	.set _ZN9rocsparseL29gebsrmm_small_blockdim_kernelILi2ELi3ELi3ELi16EdEEv20rocsparse_direction_20rocsparse_operation_iiNS_24const_host_device_scalarIT3_EEPKiS7_PKS4_iiS9_lS5_PS4_l21rocsparse_index_base_b.numbered_sgpr, 24
	.set _ZN9rocsparseL29gebsrmm_small_blockdim_kernelILi2ELi3ELi3ELi16EdEEv20rocsparse_direction_20rocsparse_operation_iiNS_24const_host_device_scalarIT3_EEPKiS7_PKS4_iiS9_lS5_PS4_l21rocsparse_index_base_b.num_named_barrier, 0
	.set _ZN9rocsparseL29gebsrmm_small_blockdim_kernelILi2ELi3ELi3ELi16EdEEv20rocsparse_direction_20rocsparse_operation_iiNS_24const_host_device_scalarIT3_EEPKiS7_PKS4_iiS9_lS5_PS4_l21rocsparse_index_base_b.private_seg_size, 0
	.set _ZN9rocsparseL29gebsrmm_small_blockdim_kernelILi2ELi3ELi3ELi16EdEEv20rocsparse_direction_20rocsparse_operation_iiNS_24const_host_device_scalarIT3_EEPKiS7_PKS4_iiS9_lS5_PS4_l21rocsparse_index_base_b.uses_vcc, 1
	.set _ZN9rocsparseL29gebsrmm_small_blockdim_kernelILi2ELi3ELi3ELi16EdEEv20rocsparse_direction_20rocsparse_operation_iiNS_24const_host_device_scalarIT3_EEPKiS7_PKS4_iiS9_lS5_PS4_l21rocsparse_index_base_b.uses_flat_scratch, 0
	.set _ZN9rocsparseL29gebsrmm_small_blockdim_kernelILi2ELi3ELi3ELi16EdEEv20rocsparse_direction_20rocsparse_operation_iiNS_24const_host_device_scalarIT3_EEPKiS7_PKS4_iiS9_lS5_PS4_l21rocsparse_index_base_b.has_dyn_sized_stack, 0
	.set _ZN9rocsparseL29gebsrmm_small_blockdim_kernelILi2ELi3ELi3ELi16EdEEv20rocsparse_direction_20rocsparse_operation_iiNS_24const_host_device_scalarIT3_EEPKiS7_PKS4_iiS9_lS5_PS4_l21rocsparse_index_base_b.has_recursion, 0
	.set _ZN9rocsparseL29gebsrmm_small_blockdim_kernelILi2ELi3ELi3ELi16EdEEv20rocsparse_direction_20rocsparse_operation_iiNS_24const_host_device_scalarIT3_EEPKiS7_PKS4_iiS9_lS5_PS4_l21rocsparse_index_base_b.has_indirect_call, 0
	.section	.AMDGPU.csdata,"",@progbits
; Kernel info:
; codeLenInByte = 1004
; TotalNumSgprs: 26
; NumVgprs: 28
; ScratchSize: 0
; MemoryBound: 0
; FloatMode: 240
; IeeeMode: 1
; LDSByteSize: 456 bytes/workgroup (compile time only)
; SGPRBlocks: 0
; VGPRBlocks: 1
; NumSGPRsForWavesPerEU: 26
; NumVGPRsForWavesPerEU: 28
; NamedBarCnt: 0
; Occupancy: 16
; WaveLimiterHint : 1
; COMPUTE_PGM_RSRC2:SCRATCH_EN: 0
; COMPUTE_PGM_RSRC2:USER_SGPR: 2
; COMPUTE_PGM_RSRC2:TRAP_HANDLER: 0
; COMPUTE_PGM_RSRC2:TGID_X_EN: 1
; COMPUTE_PGM_RSRC2:TGID_Y_EN: 1
; COMPUTE_PGM_RSRC2:TGID_Z_EN: 0
; COMPUTE_PGM_RSRC2:TIDIG_COMP_CNT: 1
	.section	.text._ZN9rocsparseL29gebsrmm_small_blockdim_kernelILi2ELi4ELi4ELi16EdEEv20rocsparse_direction_20rocsparse_operation_iiNS_24const_host_device_scalarIT3_EEPKiS7_PKS4_iiS9_lS5_PS4_l21rocsparse_index_base_b,"axG",@progbits,_ZN9rocsparseL29gebsrmm_small_blockdim_kernelILi2ELi4ELi4ELi16EdEEv20rocsparse_direction_20rocsparse_operation_iiNS_24const_host_device_scalarIT3_EEPKiS7_PKS4_iiS9_lS5_PS4_l21rocsparse_index_base_b,comdat
	.globl	_ZN9rocsparseL29gebsrmm_small_blockdim_kernelILi2ELi4ELi4ELi16EdEEv20rocsparse_direction_20rocsparse_operation_iiNS_24const_host_device_scalarIT3_EEPKiS7_PKS4_iiS9_lS5_PS4_l21rocsparse_index_base_b ; -- Begin function _ZN9rocsparseL29gebsrmm_small_blockdim_kernelILi2ELi4ELi4ELi16EdEEv20rocsparse_direction_20rocsparse_operation_iiNS_24const_host_device_scalarIT3_EEPKiS7_PKS4_iiS9_lS5_PS4_l21rocsparse_index_base_b
	.p2align	8
	.type	_ZN9rocsparseL29gebsrmm_small_blockdim_kernelILi2ELi4ELi4ELi16EdEEv20rocsparse_direction_20rocsparse_operation_iiNS_24const_host_device_scalarIT3_EEPKiS7_PKS4_iiS9_lS5_PS4_l21rocsparse_index_base_b,@function
_ZN9rocsparseL29gebsrmm_small_blockdim_kernelILi2ELi4ELi4ELi16EdEEv20rocsparse_direction_20rocsparse_operation_iiNS_24const_host_device_scalarIT3_EEPKiS7_PKS4_iiS9_lS5_PS4_l21rocsparse_index_base_b: ; @_ZN9rocsparseL29gebsrmm_small_blockdim_kernelILi2ELi4ELi4ELi16EdEEv20rocsparse_direction_20rocsparse_operation_iiNS_24const_host_device_scalarIT3_EEPKiS7_PKS4_iiS9_lS5_PS4_l21rocsparse_index_base_b
; %bb.0:
	s_clause 0x2
	s_load_b64 s[6:7], s[0:1], 0x60
	s_load_b64 s[2:3], s[0:1], 0x10
	s_load_b128 s[8:11], s[0:1], 0x40
	s_wait_kmcnt 0x0
	s_bitcmp1_b32 s7, 0
	v_mov_b64_e32 v[4:5], s[2:3]
	s_cselect_b32 s4, -1, 0
	s_delay_alu instid0(SALU_CYCLE_1)
	s_and_b32 vcc_lo, exec_lo, s4
	s_xor_b32 s4, s4, -1
	s_cbranch_vccnz .LBB17_2
; %bb.1:
	v_mov_b32_e32 v1, 0
	flat_load_b64 v[4:5], v1, s[2:3]
.LBB17_2:
	v_mov_b64_e32 v[2:3], s[10:11]
	s_and_not1_b32 vcc_lo, exec_lo, s4
	s_cbranch_vccnz .LBB17_4
; %bb.3:
	s_wait_xcnt 0x0
	v_mov_b32_e32 v1, 0
	flat_load_b64 v[2:3], v1, s[10:11]
.LBB17_4:
	s_wait_loadcnt_dscnt 0x0
	v_cmp_neq_f64_e32 vcc_lo, 0, v[4:5]
	s_delay_alu instid0(VALU_DEP_2) | instskip(SKIP_1) | instid1(SALU_CYCLE_1)
	v_cmp_neq_f64_e64 s2, 1.0, v[2:3]
	s_or_b32 s2, vcc_lo, s2
	s_and_saveexec_b32 s3, s2
	s_cbranch_execz .LBB17_22
; %bb.5:
	s_load_b128 s[16:19], s[0:1], 0x0
	s_bfe_u32 s2, ttmp6, 0x4000c
	s_and_b32 s3, ttmp6, 15
	s_add_co_i32 s2, s2, 1
	s_mov_b32 s20, 0
	s_mul_i32 s4, ttmp9, s2
	s_getreg_b32 s2, hwreg(HW_REG_IB_STS2, 6, 4)
	s_add_co_i32 s3, s3, s4
	s_cmp_eq_u32 s2, 0
	s_mov_b32 s11, 0
	s_cselect_b32 s10, ttmp9, s3
	s_wait_kmcnt 0x0
	s_cmp_lt_i32 s10, s18
	s_cselect_b32 s7, -1, 0
	s_cmp_ge_i32 s10, s18
	s_cbranch_scc1 .LBB17_7
; %bb.6:
	s_load_b64 s[4:5], s[0:1], 0x18
	s_ashr_i32 s11, s10, 31
	s_delay_alu instid0(SALU_CYCLE_1)
	s_lshl_b64 s[12:13], s[10:11], 2
	s_wait_kmcnt 0x0
	s_add_nc_u64 s[4:5], s[4:5], s[12:13]
	s_load_b64 s[12:13], s[4:5], 0x0
	s_wait_kmcnt 0x0
	s_sub_co_i32 s20, s12, s6
	s_sub_co_i32 s11, s13, s6
.LBB17_7:
	s_bfe_u32 s3, ttmp6, 0x40010
	s_bfe_u32 s4, ttmp6, 0x40004
	s_add_co_i32 s3, s3, 1
	v_bfe_u32 v8, v0, 10, 10
	s_mul_i32 s3, ttmp7, s3
	v_and_b32_e32 v14, 0x3ff, v0
	s_add_co_i32 s4, s4, s3
	s_cmp_eq_u32 s2, 0
	v_mov_b64_e32 v[0:1], 0
	s_cselect_b32 s2, ttmp7, s4
	v_cmp_gt_u32_e64 s3, 2, v14
	v_lshl_add_u32 v6, s2, 4, v8
	s_cmp_ge_i32 s20, s11
	s_delay_alu instid0(VALU_DEP_1)
	v_ashrrev_i32_e32 v7, 31, v6
	v_cmp_gt_i32_e64 s2, s19, v6
	s_cbranch_scc1 .LBB17_17
; %bb.8:
	v_mul_u64_e32 v[0:1], s[8:9], v[6:7]
	s_clause 0x1
	s_load_b64 s[22:23], s[0:1], 0x38
	s_load_b128 s[12:15], s[0:1], 0x20
	v_cmp_gt_u32_e32 vcc_lo, 4, v14
	v_cmp_gt_u32_e64 s4, 4, v8
	v_lshl_add_u32 v9, v8, 2, v14
	v_dual_lshlrev_b32 v12, 1, v8 :: v_dual_lshlrev_b32 v15, 5, v8
	s_and_b32 s18, s2, vcc_lo
	s_and_b32 s19, s3, s4
	s_cmp_lg_u32 s17, 0x6f
	v_dual_mov_b32 v11, 0 :: v_dual_lshlrev_b32 v10, 3, v14
	v_lshl_add_u32 v13, v14, 2, v8
	v_dual_lshlrev_b32 v16, 3, v9 :: v_dual_sub_nc_u32 v8, v9, v12
	s_cselect_b32 s17, -1, 0
	s_cmp_eq_u32 s16, 0
	s_cselect_b32 vcc_lo, -1, 0
	s_delay_alu instid0(VALU_DEP_1)
	v_dual_cndmask_b32 v12, v8, v13 :: v_dual_add_nc_u32 v17, 0x200, v10
	s_ashr_i32 s21, s20, 31
	v_add_nc_u32_e32 v18, 0x200, v16
	s_wait_kmcnt 0x0
	v_lshl_add_u64 v[8:9], v[6:7], 3, s[22:23]
	s_lshl_b64 s[4:5], s[20:21], 2
	v_lshl_add_u32 v19, s20, 3, v12
	s_add_nc_u64 s[4:5], s[12:13], s[4:5]
	v_lshl_add_u64 v[0:1], v[0:1], 3, s[22:23]
	s_delay_alu instid0(VALU_DEP_1)
	v_add_nc_u64_e32 v[10:11], v[0:1], v[10:11]
	v_mov_b64_e32 v[0:1], 0
	s_branch .LBB17_10
.LBB17_9:                               ;   in Loop: Header=BB17_10 Depth=1
	s_or_b32 exec_lo, exec_lo, s12
	s_wait_dscnt 0x0
	s_barrier_signal -1
	s_barrier_wait -1
	ds_load_2addr_b64 v[20:23], v17 offset1:4
	ds_load_b128 v[24:27], v15
	ds_load_b128 v[28:31], v15 offset:16
	v_add_nc_u32_e32 v19, 8, v19
	s_add_co_i32 s20, s20, 1
	s_add_nc_u64 s[4:5], s[4:5], 4
	s_cmp_ge_i32 s20, s11
	s_wait_dscnt 0x1
	v_fmac_f64_e32 v[0:1], v[20:21], v[24:25]
	s_delay_alu instid0(VALU_DEP_1)
	v_fmac_f64_e32 v[0:1], v[22:23], v[26:27]
	ds_load_2addr_b64 v[20:23], v17 offset0:8 offset1:12
	s_wait_dscnt 0x0
	s_barrier_signal -1
	s_barrier_wait -1
	v_fmac_f64_e32 v[0:1], v[20:21], v[28:29]
	s_delay_alu instid0(VALU_DEP_1)
	v_fmac_f64_e32 v[0:1], v[22:23], v[30:31]
	s_cbranch_scc1 .LBB17_17
.LBB17_10:                              ; =>This Inner Loop Header: Depth=1
	v_mov_b64_e32 v[12:13], 0
	s_and_saveexec_b32 s16, s18
	s_cbranch_execz .LBB17_15
; %bb.11:                               ;   in Loop: Header=BB17_10 Depth=1
	s_load_b32 s12, s[4:5], 0x0
	s_mov_b32 s13, -1
	s_and_b32 vcc_lo, exec_lo, s17
                                        ; implicit-def: $vgpr12_vgpr13
	s_wait_kmcnt 0x0
	s_sub_co_i32 s12, s12, s6
	s_delay_alu instid0(SALU_CYCLE_1)
	s_lshl_b32 s12, s12, 2
	s_cbranch_vccz .LBB17_13
; %bb.12:                               ;   in Loop: Header=BB17_10 Depth=1
	v_or_b32_e32 v12, s12, v14
	s_mov_b32 s13, 0
	s_delay_alu instid0(VALU_DEP_1) | instskip(NEXT) | instid1(VALU_DEP_1)
	v_ashrrev_i32_e32 v13, 31, v12
	v_mul_u64_e32 v[12:13], s[8:9], v[12:13]
	s_delay_alu instid0(VALU_DEP_1)
	v_lshl_add_u64 v[12:13], v[12:13], 3, v[8:9]
	global_load_b64 v[12:13], v[12:13], off
.LBB17_13:                              ;   in Loop: Header=BB17_10 Depth=1
	s_and_not1_b32 vcc_lo, exec_lo, s13
	s_cbranch_vccnz .LBB17_15
; %bb.14:                               ;   in Loop: Header=BB17_10 Depth=1
	s_ashr_i32 s13, s12, 31
	s_wait_loadcnt 0x0
	v_lshl_add_u64 v[12:13], s[12:13], 3, v[10:11]
	global_load_b64 v[12:13], v[12:13], off
.LBB17_15:                              ;   in Loop: Header=BB17_10 Depth=1
	s_wait_xcnt 0x0
	s_or_b32 exec_lo, exec_lo, s16
	s_wait_loadcnt 0x0
	ds_store_b64 v16, v[12:13]
	s_and_saveexec_b32 s12, s19
	s_cbranch_execz .LBB17_9
; %bb.16:                               ;   in Loop: Header=BB17_10 Depth=1
	global_load_b64 v[12:13], v19, s[14:15] scale_offset
	s_wait_loadcnt 0x0
	ds_store_b64 v18, v[12:13]
	s_branch .LBB17_9
.LBB17_17:
	s_load_b64 s[4:5], s[0:1], 0x50
	s_and_b32 s2, s7, s2
	s_delay_alu instid0(SALU_CYCLE_1) | instskip(NEXT) | instid1(SALU_CYCLE_1)
	s_and_b32 s2, s2, s3
	s_and_b32 exec_lo, exec_lo, s2
	s_cbranch_execz .LBB17_22
; %bb.18:
	s_wait_xcnt 0x0
	s_load_b64 s[0:1], s[0:1], 0x58
	s_delay_alu instid0(VALU_DEP_1) | instskip(SKIP_1) | instid1(VALU_DEP_1)
	v_mul_f64_e32 v[0:1], v[4:5], v[0:1]
	v_lshl_add_u32 v4, s10, 1, v14
	v_ashrrev_i32_e32 v5, 31, v4
	s_wait_kmcnt 0x0
	v_mul_u64_e32 v[6:7], s[0:1], v[6:7]
	s_mov_b32 s0, exec_lo
	s_delay_alu instid0(VALU_DEP_1)
	v_lshl_add_u64 v[6:7], v[6:7], 3, s[4:5]
	v_cmpx_neq_f64_e32 0, v[2:3]
	s_xor_b32 s0, exec_lo, s0
	s_cbranch_execz .LBB17_20
; %bb.19:
	s_delay_alu instid0(VALU_DEP_2)
	v_lshl_add_u64 v[4:5], v[4:5], 3, v[6:7]
	global_load_b64 v[6:7], v[4:5], off
	s_wait_loadcnt 0x0
	v_fmac_f64_e32 v[0:1], v[2:3], v[6:7]
                                        ; implicit-def: $vgpr6_vgpr7
	global_store_b64 v[4:5], v[0:1], off
                                        ; implicit-def: $vgpr4
                                        ; implicit-def: $vgpr0_vgpr1
.LBB17_20:
	s_wait_xcnt 0x0
	s_and_not1_saveexec_b32 s0, s0
	s_cbranch_execz .LBB17_22
; %bb.21:
	v_lshl_add_u64 v[2:3], v[4:5], 3, v[6:7]
	global_store_b64 v[2:3], v[0:1], off
.LBB17_22:
	s_endpgm
	.section	.rodata,"a",@progbits
	.p2align	6, 0x0
	.amdhsa_kernel _ZN9rocsparseL29gebsrmm_small_blockdim_kernelILi2ELi4ELi4ELi16EdEEv20rocsparse_direction_20rocsparse_operation_iiNS_24const_host_device_scalarIT3_EEPKiS7_PKS4_iiS9_lS5_PS4_l21rocsparse_index_base_b
		.amdhsa_group_segment_fixed_size 640
		.amdhsa_private_segment_fixed_size 0
		.amdhsa_kernarg_size 104
		.amdhsa_user_sgpr_count 2
		.amdhsa_user_sgpr_dispatch_ptr 0
		.amdhsa_user_sgpr_queue_ptr 0
		.amdhsa_user_sgpr_kernarg_segment_ptr 1
		.amdhsa_user_sgpr_dispatch_id 0
		.amdhsa_user_sgpr_kernarg_preload_length 0
		.amdhsa_user_sgpr_kernarg_preload_offset 0
		.amdhsa_user_sgpr_private_segment_size 0
		.amdhsa_wavefront_size32 1
		.amdhsa_uses_dynamic_stack 0
		.amdhsa_enable_private_segment 0
		.amdhsa_system_sgpr_workgroup_id_x 1
		.amdhsa_system_sgpr_workgroup_id_y 1
		.amdhsa_system_sgpr_workgroup_id_z 0
		.amdhsa_system_sgpr_workgroup_info 0
		.amdhsa_system_vgpr_workitem_id 1
		.amdhsa_next_free_vgpr 32
		.amdhsa_next_free_sgpr 24
		.amdhsa_named_barrier_count 0
		.amdhsa_reserve_vcc 1
		.amdhsa_float_round_mode_32 0
		.amdhsa_float_round_mode_16_64 0
		.amdhsa_float_denorm_mode_32 3
		.amdhsa_float_denorm_mode_16_64 3
		.amdhsa_fp16_overflow 0
		.amdhsa_memory_ordered 1
		.amdhsa_forward_progress 1
		.amdhsa_inst_pref_size 8
		.amdhsa_round_robin_scheduling 0
		.amdhsa_exception_fp_ieee_invalid_op 0
		.amdhsa_exception_fp_denorm_src 0
		.amdhsa_exception_fp_ieee_div_zero 0
		.amdhsa_exception_fp_ieee_overflow 0
		.amdhsa_exception_fp_ieee_underflow 0
		.amdhsa_exception_fp_ieee_inexact 0
		.amdhsa_exception_int_div_zero 0
	.end_amdhsa_kernel
	.section	.text._ZN9rocsparseL29gebsrmm_small_blockdim_kernelILi2ELi4ELi4ELi16EdEEv20rocsparse_direction_20rocsparse_operation_iiNS_24const_host_device_scalarIT3_EEPKiS7_PKS4_iiS9_lS5_PS4_l21rocsparse_index_base_b,"axG",@progbits,_ZN9rocsparseL29gebsrmm_small_blockdim_kernelILi2ELi4ELi4ELi16EdEEv20rocsparse_direction_20rocsparse_operation_iiNS_24const_host_device_scalarIT3_EEPKiS7_PKS4_iiS9_lS5_PS4_l21rocsparse_index_base_b,comdat
.Lfunc_end17:
	.size	_ZN9rocsparseL29gebsrmm_small_blockdim_kernelILi2ELi4ELi4ELi16EdEEv20rocsparse_direction_20rocsparse_operation_iiNS_24const_host_device_scalarIT3_EEPKiS7_PKS4_iiS9_lS5_PS4_l21rocsparse_index_base_b, .Lfunc_end17-_ZN9rocsparseL29gebsrmm_small_blockdim_kernelILi2ELi4ELi4ELi16EdEEv20rocsparse_direction_20rocsparse_operation_iiNS_24const_host_device_scalarIT3_EEPKiS7_PKS4_iiS9_lS5_PS4_l21rocsparse_index_base_b
                                        ; -- End function
	.set _ZN9rocsparseL29gebsrmm_small_blockdim_kernelILi2ELi4ELi4ELi16EdEEv20rocsparse_direction_20rocsparse_operation_iiNS_24const_host_device_scalarIT3_EEPKiS7_PKS4_iiS9_lS5_PS4_l21rocsparse_index_base_b.num_vgpr, 32
	.set _ZN9rocsparseL29gebsrmm_small_blockdim_kernelILi2ELi4ELi4ELi16EdEEv20rocsparse_direction_20rocsparse_operation_iiNS_24const_host_device_scalarIT3_EEPKiS7_PKS4_iiS9_lS5_PS4_l21rocsparse_index_base_b.num_agpr, 0
	.set _ZN9rocsparseL29gebsrmm_small_blockdim_kernelILi2ELi4ELi4ELi16EdEEv20rocsparse_direction_20rocsparse_operation_iiNS_24const_host_device_scalarIT3_EEPKiS7_PKS4_iiS9_lS5_PS4_l21rocsparse_index_base_b.numbered_sgpr, 24
	.set _ZN9rocsparseL29gebsrmm_small_blockdim_kernelILi2ELi4ELi4ELi16EdEEv20rocsparse_direction_20rocsparse_operation_iiNS_24const_host_device_scalarIT3_EEPKiS7_PKS4_iiS9_lS5_PS4_l21rocsparse_index_base_b.num_named_barrier, 0
	.set _ZN9rocsparseL29gebsrmm_small_blockdim_kernelILi2ELi4ELi4ELi16EdEEv20rocsparse_direction_20rocsparse_operation_iiNS_24const_host_device_scalarIT3_EEPKiS7_PKS4_iiS9_lS5_PS4_l21rocsparse_index_base_b.private_seg_size, 0
	.set _ZN9rocsparseL29gebsrmm_small_blockdim_kernelILi2ELi4ELi4ELi16EdEEv20rocsparse_direction_20rocsparse_operation_iiNS_24const_host_device_scalarIT3_EEPKiS7_PKS4_iiS9_lS5_PS4_l21rocsparse_index_base_b.uses_vcc, 1
	.set _ZN9rocsparseL29gebsrmm_small_blockdim_kernelILi2ELi4ELi4ELi16EdEEv20rocsparse_direction_20rocsparse_operation_iiNS_24const_host_device_scalarIT3_EEPKiS7_PKS4_iiS9_lS5_PS4_l21rocsparse_index_base_b.uses_flat_scratch, 0
	.set _ZN9rocsparseL29gebsrmm_small_blockdim_kernelILi2ELi4ELi4ELi16EdEEv20rocsparse_direction_20rocsparse_operation_iiNS_24const_host_device_scalarIT3_EEPKiS7_PKS4_iiS9_lS5_PS4_l21rocsparse_index_base_b.has_dyn_sized_stack, 0
	.set _ZN9rocsparseL29gebsrmm_small_blockdim_kernelILi2ELi4ELi4ELi16EdEEv20rocsparse_direction_20rocsparse_operation_iiNS_24const_host_device_scalarIT3_EEPKiS7_PKS4_iiS9_lS5_PS4_l21rocsparse_index_base_b.has_recursion, 0
	.set _ZN9rocsparseL29gebsrmm_small_blockdim_kernelILi2ELi4ELi4ELi16EdEEv20rocsparse_direction_20rocsparse_operation_iiNS_24const_host_device_scalarIT3_EEPKiS7_PKS4_iiS9_lS5_PS4_l21rocsparse_index_base_b.has_indirect_call, 0
	.section	.AMDGPU.csdata,"",@progbits
; Kernel info:
; codeLenInByte = 1016
; TotalNumSgprs: 26
; NumVgprs: 32
; ScratchSize: 0
; MemoryBound: 0
; FloatMode: 240
; IeeeMode: 1
; LDSByteSize: 640 bytes/workgroup (compile time only)
; SGPRBlocks: 0
; VGPRBlocks: 1
; NumSGPRsForWavesPerEU: 26
; NumVGPRsForWavesPerEU: 32
; NamedBarCnt: 0
; Occupancy: 16
; WaveLimiterHint : 1
; COMPUTE_PGM_RSRC2:SCRATCH_EN: 0
; COMPUTE_PGM_RSRC2:USER_SGPR: 2
; COMPUTE_PGM_RSRC2:TRAP_HANDLER: 0
; COMPUTE_PGM_RSRC2:TGID_X_EN: 1
; COMPUTE_PGM_RSRC2:TGID_Y_EN: 1
; COMPUTE_PGM_RSRC2:TGID_Z_EN: 0
; COMPUTE_PGM_RSRC2:TIDIG_COMP_CNT: 1
	.section	.text._ZN9rocsparseL29gebsrmm_small_blockdim_kernelILi3ELi1ELi3ELi16EdEEv20rocsparse_direction_20rocsparse_operation_iiNS_24const_host_device_scalarIT3_EEPKiS7_PKS4_iiS9_lS5_PS4_l21rocsparse_index_base_b,"axG",@progbits,_ZN9rocsparseL29gebsrmm_small_blockdim_kernelILi3ELi1ELi3ELi16EdEEv20rocsparse_direction_20rocsparse_operation_iiNS_24const_host_device_scalarIT3_EEPKiS7_PKS4_iiS9_lS5_PS4_l21rocsparse_index_base_b,comdat
	.globl	_ZN9rocsparseL29gebsrmm_small_blockdim_kernelILi3ELi1ELi3ELi16EdEEv20rocsparse_direction_20rocsparse_operation_iiNS_24const_host_device_scalarIT3_EEPKiS7_PKS4_iiS9_lS5_PS4_l21rocsparse_index_base_b ; -- Begin function _ZN9rocsparseL29gebsrmm_small_blockdim_kernelILi3ELi1ELi3ELi16EdEEv20rocsparse_direction_20rocsparse_operation_iiNS_24const_host_device_scalarIT3_EEPKiS7_PKS4_iiS9_lS5_PS4_l21rocsparse_index_base_b
	.p2align	8
	.type	_ZN9rocsparseL29gebsrmm_small_blockdim_kernelILi3ELi1ELi3ELi16EdEEv20rocsparse_direction_20rocsparse_operation_iiNS_24const_host_device_scalarIT3_EEPKiS7_PKS4_iiS9_lS5_PS4_l21rocsparse_index_base_b,@function
_ZN9rocsparseL29gebsrmm_small_blockdim_kernelILi3ELi1ELi3ELi16EdEEv20rocsparse_direction_20rocsparse_operation_iiNS_24const_host_device_scalarIT3_EEPKiS7_PKS4_iiS9_lS5_PS4_l21rocsparse_index_base_b: ; @_ZN9rocsparseL29gebsrmm_small_blockdim_kernelILi3ELi1ELi3ELi16EdEEv20rocsparse_direction_20rocsparse_operation_iiNS_24const_host_device_scalarIT3_EEPKiS7_PKS4_iiS9_lS5_PS4_l21rocsparse_index_base_b
; %bb.0:
	s_clause 0x2
	s_load_b64 s[6:7], s[0:1], 0x60
	s_load_b64 s[2:3], s[0:1], 0x10
	s_load_b128 s[8:11], s[0:1], 0x40
	s_wait_kmcnt 0x0
	s_bitcmp1_b32 s7, 0
	v_mov_b64_e32 v[4:5], s[2:3]
	s_cselect_b32 s4, -1, 0
	s_delay_alu instid0(SALU_CYCLE_1)
	s_and_b32 vcc_lo, exec_lo, s4
	s_xor_b32 s4, s4, -1
	s_cbranch_vccnz .LBB18_2
; %bb.1:
	v_mov_b32_e32 v1, 0
	flat_load_b64 v[4:5], v1, s[2:3]
.LBB18_2:
	v_mov_b64_e32 v[2:3], s[10:11]
	s_and_not1_b32 vcc_lo, exec_lo, s4
	s_cbranch_vccnz .LBB18_4
; %bb.3:
	s_wait_xcnt 0x0
	v_mov_b32_e32 v1, 0
	flat_load_b64 v[2:3], v1, s[10:11]
.LBB18_4:
	s_wait_loadcnt_dscnt 0x0
	v_cmp_neq_f64_e32 vcc_lo, 0, v[4:5]
	s_delay_alu instid0(VALU_DEP_2) | instskip(SKIP_1) | instid1(SALU_CYCLE_1)
	v_cmp_neq_f64_e64 s2, 1.0, v[2:3]
	s_or_b32 s2, vcc_lo, s2
	s_and_saveexec_b32 s3, s2
	s_cbranch_execz .LBB18_22
; %bb.5:
	s_load_b96 s[16:18], s[0:1], 0x4
	s_bfe_u32 s2, ttmp6, 0x4000c
	s_and_b32 s3, ttmp6, 15
	s_add_co_i32 s2, s2, 1
	s_mov_b32 s20, 0
	s_mul_i32 s4, ttmp9, s2
	s_getreg_b32 s2, hwreg(HW_REG_IB_STS2, 6, 4)
	s_add_co_i32 s3, s3, s4
	s_cmp_eq_u32 s2, 0
	s_mov_b32 s11, 0
	s_cselect_b32 s10, ttmp9, s3
	s_wait_kmcnt 0x0
	s_cmp_lt_i32 s10, s17
	s_cselect_b32 s7, -1, 0
	s_cmp_ge_i32 s10, s17
	s_cbranch_scc1 .LBB18_7
; %bb.6:
	s_load_b64 s[4:5], s[0:1], 0x18
	s_ashr_i32 s11, s10, 31
	s_delay_alu instid0(SALU_CYCLE_1)
	s_lshl_b64 s[12:13], s[10:11], 2
	s_wait_kmcnt 0x0
	s_add_nc_u64 s[4:5], s[4:5], s[12:13]
	s_load_b64 s[12:13], s[4:5], 0x0
	s_wait_kmcnt 0x0
	s_sub_co_i32 s20, s12, s6
	s_sub_co_i32 s11, s13, s6
.LBB18_7:
	s_bfe_u32 s3, ttmp6, 0x40010
	s_bfe_u32 s4, ttmp6, 0x40004
	s_add_co_i32 s3, s3, 1
	v_bfe_u32 v8, v0, 10, 10
	s_mul_i32 s3, ttmp7, s3
	v_and_b32_e32 v14, 0x3ff, v0
	s_add_co_i32 s4, s4, s3
	s_cmp_eq_u32 s2, 0
	v_mov_b64_e32 v[0:1], 0
	s_cselect_b32 s2, ttmp7, s4
	v_cmp_gt_u32_e64 s3, 3, v14
	v_lshl_add_u32 v6, s2, 4, v8
	s_cmp_ge_i32 s20, s11
	s_delay_alu instid0(VALU_DEP_1)
	v_ashrrev_i32_e32 v7, 31, v6
	v_cmp_gt_i32_e64 s2, s18, v6
	s_cbranch_scc1 .LBB18_17
; %bb.8:
	v_mul_u64_e32 v[10:11], s[8:9], v[6:7]
	s_clause 0x1
	s_load_b64 s[22:23], s[0:1], 0x38
	s_load_b128 s[12:15], s[0:1], 0x20
	v_mul_u32_u24_e32 v12, 3, v8
	v_cmp_eq_u32_e32 vcc_lo, 0, v14
	v_cmp_eq_u32_e64 s4, 0, v8
	v_mad_u32 v16, s20, 3, v14
	v_mov_b64_e32 v[0:1], 0
	v_add_lshl_u32 v17, v12, v14, 3
	s_and_b32 s17, vcc_lo, s2
	s_and_b32 s18, s3, s4
	s_cmp_lg_u32 s16, 0x6f
	v_lshl_add_u32 v15, v14, 3, 0x180
	s_cselect_b32 s16, -1, 0
	s_ashr_i32 s21, s20, 31
	v_add_nc_u32_e32 v18, 0x180, v17
	v_lshlrev_b32_e32 v19, 3, v12
	s_lshl_b64 s[4:5], s[20:21], 2
	s_wait_kmcnt 0x0
	v_lshl_add_u64 v[8:9], v[6:7], 3, s[22:23]
	s_add_nc_u64 s[4:5], s[12:13], s[4:5]
	v_lshl_add_u64 v[10:11], v[10:11], 3, s[22:23]
	s_branch .LBB18_10
.LBB18_9:                               ;   in Loop: Header=BB18_10 Depth=1
	s_or_b32 exec_lo, exec_lo, s12
	s_wait_dscnt 0x0
	s_barrier_signal -1
	s_barrier_wait -1
	ds_load_b64 v[12:13], v15
	ds_load_b64 v[20:21], v19
	v_add_nc_u32_e32 v16, 3, v16
	s_add_co_i32 s20, s20, 1
	s_add_nc_u64 s[4:5], s[4:5], 4
	s_cmp_ge_i32 s20, s11
	s_wait_dscnt 0x0
	s_barrier_signal -1
	s_barrier_wait -1
	v_fmac_f64_e32 v[0:1], v[12:13], v[20:21]
	s_cbranch_scc1 .LBB18_17
.LBB18_10:                              ; =>This Inner Loop Header: Depth=1
	v_mov_b64_e32 v[12:13], 0
	s_and_saveexec_b32 s19, s17
	s_cbranch_execz .LBB18_15
; %bb.11:                               ;   in Loop: Header=BB18_10 Depth=1
	s_load_b32 s12, s[4:5], 0x0
	s_mov_b32 s21, -1
	s_and_b32 vcc_lo, exec_lo, s16
                                        ; implicit-def: $vgpr12_vgpr13
	s_wait_kmcnt 0x0
	s_sub_co_i32 s12, s12, s6
	s_delay_alu instid0(SALU_CYCLE_1)
	s_ashr_i32 s13, s12, 31
	s_cbranch_vccz .LBB18_13
; %bb.12:                               ;   in Loop: Header=BB18_10 Depth=1
	s_mul_u64 s[22:23], s[8:9], s[12:13]
	s_mov_b32 s21, 0
	v_lshl_add_u64 v[12:13], s[22:23], 3, v[8:9]
	global_load_b64 v[12:13], v[12:13], off
.LBB18_13:                              ;   in Loop: Header=BB18_10 Depth=1
	s_and_not1_b32 vcc_lo, exec_lo, s21
	s_cbranch_vccnz .LBB18_15
; %bb.14:                               ;   in Loop: Header=BB18_10 Depth=1
	s_wait_loadcnt 0x0
	v_lshl_add_u64 v[12:13], s[12:13], 3, v[10:11]
	global_load_b64 v[12:13], v[12:13], off
.LBB18_15:                              ;   in Loop: Header=BB18_10 Depth=1
	s_wait_xcnt 0x0
	s_or_b32 exec_lo, exec_lo, s19
	s_wait_loadcnt 0x0
	ds_store_b64 v17, v[12:13]
	s_and_saveexec_b32 s12, s18
	s_cbranch_execz .LBB18_9
; %bb.16:                               ;   in Loop: Header=BB18_10 Depth=1
	global_load_b64 v[12:13], v16, s[14:15] scale_offset
	s_wait_loadcnt 0x0
	ds_store_b64 v18, v[12:13]
	s_branch .LBB18_9
.LBB18_17:
	s_load_b64 s[4:5], s[0:1], 0x50
	s_and_b32 s2, s7, s2
	s_delay_alu instid0(SALU_CYCLE_1) | instskip(NEXT) | instid1(SALU_CYCLE_1)
	s_and_b32 s2, s2, s3
	s_and_b32 exec_lo, exec_lo, s2
	s_cbranch_execz .LBB18_22
; %bb.18:
	s_wait_xcnt 0x0
	s_load_b64 s[0:1], s[0:1], 0x58
	s_delay_alu instid0(VALU_DEP_1) | instskip(SKIP_1) | instid1(VALU_DEP_1)
	v_mul_f64_e32 v[0:1], v[4:5], v[0:1]
	v_mad_u32 v4, s10, 3, v14
	v_ashrrev_i32_e32 v5, 31, v4
	s_wait_kmcnt 0x0
	v_mul_u64_e32 v[6:7], s[0:1], v[6:7]
	s_mov_b32 s0, exec_lo
	s_delay_alu instid0(VALU_DEP_1)
	v_lshl_add_u64 v[6:7], v[6:7], 3, s[4:5]
	v_cmpx_neq_f64_e32 0, v[2:3]
	s_xor_b32 s0, exec_lo, s0
	s_cbranch_execz .LBB18_20
; %bb.19:
	s_delay_alu instid0(VALU_DEP_2)
	v_lshl_add_u64 v[4:5], v[4:5], 3, v[6:7]
	global_load_b64 v[6:7], v[4:5], off
	s_wait_loadcnt 0x0
	v_fmac_f64_e32 v[0:1], v[2:3], v[6:7]
                                        ; implicit-def: $vgpr6_vgpr7
	global_store_b64 v[4:5], v[0:1], off
                                        ; implicit-def: $vgpr4
                                        ; implicit-def: $vgpr0_vgpr1
.LBB18_20:
	s_wait_xcnt 0x0
	s_and_not1_saveexec_b32 s0, s0
	s_cbranch_execz .LBB18_22
; %bb.21:
	v_lshl_add_u64 v[2:3], v[4:5], 3, v[6:7]
	global_store_b64 v[2:3], v[0:1], off
.LBB18_22:
	s_endpgm
	.section	.rodata,"a",@progbits
	.p2align	6, 0x0
	.amdhsa_kernel _ZN9rocsparseL29gebsrmm_small_blockdim_kernelILi3ELi1ELi3ELi16EdEEv20rocsparse_direction_20rocsparse_operation_iiNS_24const_host_device_scalarIT3_EEPKiS7_PKS4_iiS9_lS5_PS4_l21rocsparse_index_base_b
		.amdhsa_group_segment_fixed_size 456
		.amdhsa_private_segment_fixed_size 0
		.amdhsa_kernarg_size 104
		.amdhsa_user_sgpr_count 2
		.amdhsa_user_sgpr_dispatch_ptr 0
		.amdhsa_user_sgpr_queue_ptr 0
		.amdhsa_user_sgpr_kernarg_segment_ptr 1
		.amdhsa_user_sgpr_dispatch_id 0
		.amdhsa_user_sgpr_kernarg_preload_length 0
		.amdhsa_user_sgpr_kernarg_preload_offset 0
		.amdhsa_user_sgpr_private_segment_size 0
		.amdhsa_wavefront_size32 1
		.amdhsa_uses_dynamic_stack 0
		.amdhsa_enable_private_segment 0
		.amdhsa_system_sgpr_workgroup_id_x 1
		.amdhsa_system_sgpr_workgroup_id_y 1
		.amdhsa_system_sgpr_workgroup_id_z 0
		.amdhsa_system_sgpr_workgroup_info 0
		.amdhsa_system_vgpr_workitem_id 1
		.amdhsa_next_free_vgpr 22
		.amdhsa_next_free_sgpr 24
		.amdhsa_named_barrier_count 0
		.amdhsa_reserve_vcc 1
		.amdhsa_float_round_mode_32 0
		.amdhsa_float_round_mode_16_64 0
		.amdhsa_float_denorm_mode_32 3
		.amdhsa_float_denorm_mode_16_64 3
		.amdhsa_fp16_overflow 0
		.amdhsa_memory_ordered 1
		.amdhsa_forward_progress 1
		.amdhsa_inst_pref_size 8
		.amdhsa_round_robin_scheduling 0
		.amdhsa_exception_fp_ieee_invalid_op 0
		.amdhsa_exception_fp_denorm_src 0
		.amdhsa_exception_fp_ieee_div_zero 0
		.amdhsa_exception_fp_ieee_overflow 0
		.amdhsa_exception_fp_ieee_underflow 0
		.amdhsa_exception_fp_ieee_inexact 0
		.amdhsa_exception_int_div_zero 0
	.end_amdhsa_kernel
	.section	.text._ZN9rocsparseL29gebsrmm_small_blockdim_kernelILi3ELi1ELi3ELi16EdEEv20rocsparse_direction_20rocsparse_operation_iiNS_24const_host_device_scalarIT3_EEPKiS7_PKS4_iiS9_lS5_PS4_l21rocsparse_index_base_b,"axG",@progbits,_ZN9rocsparseL29gebsrmm_small_blockdim_kernelILi3ELi1ELi3ELi16EdEEv20rocsparse_direction_20rocsparse_operation_iiNS_24const_host_device_scalarIT3_EEPKiS7_PKS4_iiS9_lS5_PS4_l21rocsparse_index_base_b,comdat
.Lfunc_end18:
	.size	_ZN9rocsparseL29gebsrmm_small_blockdim_kernelILi3ELi1ELi3ELi16EdEEv20rocsparse_direction_20rocsparse_operation_iiNS_24const_host_device_scalarIT3_EEPKiS7_PKS4_iiS9_lS5_PS4_l21rocsparse_index_base_b, .Lfunc_end18-_ZN9rocsparseL29gebsrmm_small_blockdim_kernelILi3ELi1ELi3ELi16EdEEv20rocsparse_direction_20rocsparse_operation_iiNS_24const_host_device_scalarIT3_EEPKiS7_PKS4_iiS9_lS5_PS4_l21rocsparse_index_base_b
                                        ; -- End function
	.set _ZN9rocsparseL29gebsrmm_small_blockdim_kernelILi3ELi1ELi3ELi16EdEEv20rocsparse_direction_20rocsparse_operation_iiNS_24const_host_device_scalarIT3_EEPKiS7_PKS4_iiS9_lS5_PS4_l21rocsparse_index_base_b.num_vgpr, 22
	.set _ZN9rocsparseL29gebsrmm_small_blockdim_kernelILi3ELi1ELi3ELi16EdEEv20rocsparse_direction_20rocsparse_operation_iiNS_24const_host_device_scalarIT3_EEPKiS7_PKS4_iiS9_lS5_PS4_l21rocsparse_index_base_b.num_agpr, 0
	.set _ZN9rocsparseL29gebsrmm_small_blockdim_kernelILi3ELi1ELi3ELi16EdEEv20rocsparse_direction_20rocsparse_operation_iiNS_24const_host_device_scalarIT3_EEPKiS7_PKS4_iiS9_lS5_PS4_l21rocsparse_index_base_b.numbered_sgpr, 24
	.set _ZN9rocsparseL29gebsrmm_small_blockdim_kernelILi3ELi1ELi3ELi16EdEEv20rocsparse_direction_20rocsparse_operation_iiNS_24const_host_device_scalarIT3_EEPKiS7_PKS4_iiS9_lS5_PS4_l21rocsparse_index_base_b.num_named_barrier, 0
	.set _ZN9rocsparseL29gebsrmm_small_blockdim_kernelILi3ELi1ELi3ELi16EdEEv20rocsparse_direction_20rocsparse_operation_iiNS_24const_host_device_scalarIT3_EEPKiS7_PKS4_iiS9_lS5_PS4_l21rocsparse_index_base_b.private_seg_size, 0
	.set _ZN9rocsparseL29gebsrmm_small_blockdim_kernelILi3ELi1ELi3ELi16EdEEv20rocsparse_direction_20rocsparse_operation_iiNS_24const_host_device_scalarIT3_EEPKiS7_PKS4_iiS9_lS5_PS4_l21rocsparse_index_base_b.uses_vcc, 1
	.set _ZN9rocsparseL29gebsrmm_small_blockdim_kernelILi3ELi1ELi3ELi16EdEEv20rocsparse_direction_20rocsparse_operation_iiNS_24const_host_device_scalarIT3_EEPKiS7_PKS4_iiS9_lS5_PS4_l21rocsparse_index_base_b.uses_flat_scratch, 0
	.set _ZN9rocsparseL29gebsrmm_small_blockdim_kernelILi3ELi1ELi3ELi16EdEEv20rocsparse_direction_20rocsparse_operation_iiNS_24const_host_device_scalarIT3_EEPKiS7_PKS4_iiS9_lS5_PS4_l21rocsparse_index_base_b.has_dyn_sized_stack, 0
	.set _ZN9rocsparseL29gebsrmm_small_blockdim_kernelILi3ELi1ELi3ELi16EdEEv20rocsparse_direction_20rocsparse_operation_iiNS_24const_host_device_scalarIT3_EEPKiS7_PKS4_iiS9_lS5_PS4_l21rocsparse_index_base_b.has_recursion, 0
	.set _ZN9rocsparseL29gebsrmm_small_blockdim_kernelILi3ELi1ELi3ELi16EdEEv20rocsparse_direction_20rocsparse_operation_iiNS_24const_host_device_scalarIT3_EEPKiS7_PKS4_iiS9_lS5_PS4_l21rocsparse_index_base_b.has_indirect_call, 0
	.section	.AMDGPU.csdata,"",@progbits
; Kernel info:
; codeLenInByte = 904
; TotalNumSgprs: 26
; NumVgprs: 22
; ScratchSize: 0
; MemoryBound: 0
; FloatMode: 240
; IeeeMode: 1
; LDSByteSize: 456 bytes/workgroup (compile time only)
; SGPRBlocks: 0
; VGPRBlocks: 1
; NumSGPRsForWavesPerEU: 26
; NumVGPRsForWavesPerEU: 22
; NamedBarCnt: 0
; Occupancy: 16
; WaveLimiterHint : 1
; COMPUTE_PGM_RSRC2:SCRATCH_EN: 0
; COMPUTE_PGM_RSRC2:USER_SGPR: 2
; COMPUTE_PGM_RSRC2:TRAP_HANDLER: 0
; COMPUTE_PGM_RSRC2:TGID_X_EN: 1
; COMPUTE_PGM_RSRC2:TGID_Y_EN: 1
; COMPUTE_PGM_RSRC2:TGID_Z_EN: 0
; COMPUTE_PGM_RSRC2:TIDIG_COMP_CNT: 1
	.section	.text._ZN9rocsparseL29gebsrmm_small_blockdim_kernelILi3ELi2ELi3ELi16EdEEv20rocsparse_direction_20rocsparse_operation_iiNS_24const_host_device_scalarIT3_EEPKiS7_PKS4_iiS9_lS5_PS4_l21rocsparse_index_base_b,"axG",@progbits,_ZN9rocsparseL29gebsrmm_small_blockdim_kernelILi3ELi2ELi3ELi16EdEEv20rocsparse_direction_20rocsparse_operation_iiNS_24const_host_device_scalarIT3_EEPKiS7_PKS4_iiS9_lS5_PS4_l21rocsparse_index_base_b,comdat
	.globl	_ZN9rocsparseL29gebsrmm_small_blockdim_kernelILi3ELi2ELi3ELi16EdEEv20rocsparse_direction_20rocsparse_operation_iiNS_24const_host_device_scalarIT3_EEPKiS7_PKS4_iiS9_lS5_PS4_l21rocsparse_index_base_b ; -- Begin function _ZN9rocsparseL29gebsrmm_small_blockdim_kernelILi3ELi2ELi3ELi16EdEEv20rocsparse_direction_20rocsparse_operation_iiNS_24const_host_device_scalarIT3_EEPKiS7_PKS4_iiS9_lS5_PS4_l21rocsparse_index_base_b
	.p2align	8
	.type	_ZN9rocsparseL29gebsrmm_small_blockdim_kernelILi3ELi2ELi3ELi16EdEEv20rocsparse_direction_20rocsparse_operation_iiNS_24const_host_device_scalarIT3_EEPKiS7_PKS4_iiS9_lS5_PS4_l21rocsparse_index_base_b,@function
_ZN9rocsparseL29gebsrmm_small_blockdim_kernelILi3ELi2ELi3ELi16EdEEv20rocsparse_direction_20rocsparse_operation_iiNS_24const_host_device_scalarIT3_EEPKiS7_PKS4_iiS9_lS5_PS4_l21rocsparse_index_base_b: ; @_ZN9rocsparseL29gebsrmm_small_blockdim_kernelILi3ELi2ELi3ELi16EdEEv20rocsparse_direction_20rocsparse_operation_iiNS_24const_host_device_scalarIT3_EEPKiS7_PKS4_iiS9_lS5_PS4_l21rocsparse_index_base_b
; %bb.0:
	s_clause 0x2
	s_load_b64 s[6:7], s[0:1], 0x60
	s_load_b64 s[2:3], s[0:1], 0x10
	s_load_b128 s[8:11], s[0:1], 0x40
	s_wait_kmcnt 0x0
	s_bitcmp1_b32 s7, 0
	v_mov_b64_e32 v[4:5], s[2:3]
	s_cselect_b32 s4, -1, 0
	s_delay_alu instid0(SALU_CYCLE_1)
	s_and_b32 vcc_lo, exec_lo, s4
	s_xor_b32 s4, s4, -1
	s_cbranch_vccnz .LBB19_2
; %bb.1:
	v_mov_b32_e32 v1, 0
	flat_load_b64 v[4:5], v1, s[2:3]
.LBB19_2:
	v_mov_b64_e32 v[2:3], s[10:11]
	s_and_not1_b32 vcc_lo, exec_lo, s4
	s_cbranch_vccnz .LBB19_4
; %bb.3:
	s_wait_xcnt 0x0
	v_mov_b32_e32 v1, 0
	flat_load_b64 v[2:3], v1, s[10:11]
.LBB19_4:
	s_wait_loadcnt_dscnt 0x0
	v_cmp_neq_f64_e32 vcc_lo, 0, v[4:5]
	s_delay_alu instid0(VALU_DEP_2) | instskip(SKIP_1) | instid1(SALU_CYCLE_1)
	v_cmp_neq_f64_e64 s2, 1.0, v[2:3]
	s_or_b32 s2, vcc_lo, s2
	s_and_saveexec_b32 s3, s2
	s_cbranch_execz .LBB19_22
; %bb.5:
	s_load_b128 s[16:19], s[0:1], 0x0
	s_bfe_u32 s2, ttmp6, 0x4000c
	s_and_b32 s3, ttmp6, 15
	s_add_co_i32 s2, s2, 1
	s_mov_b32 s20, 0
	s_mul_i32 s4, ttmp9, s2
	s_getreg_b32 s2, hwreg(HW_REG_IB_STS2, 6, 4)
	s_add_co_i32 s3, s3, s4
	s_cmp_eq_u32 s2, 0
	s_mov_b32 s11, 0
	s_cselect_b32 s10, ttmp9, s3
	s_wait_kmcnt 0x0
	s_cmp_lt_i32 s10, s18
	s_cselect_b32 s7, -1, 0
	s_cmp_ge_i32 s10, s18
	s_cbranch_scc1 .LBB19_7
; %bb.6:
	s_load_b64 s[4:5], s[0:1], 0x18
	s_ashr_i32 s11, s10, 31
	s_delay_alu instid0(SALU_CYCLE_1)
	s_lshl_b64 s[12:13], s[10:11], 2
	s_wait_kmcnt 0x0
	s_add_nc_u64 s[4:5], s[4:5], s[12:13]
	s_load_b64 s[12:13], s[4:5], 0x0
	s_wait_kmcnt 0x0
	s_sub_co_i32 s20, s12, s6
	s_sub_co_i32 s11, s13, s6
.LBB19_7:
	s_bfe_u32 s3, ttmp6, 0x40010
	s_bfe_u32 s4, ttmp6, 0x40004
	s_add_co_i32 s3, s3, 1
	v_bfe_u32 v8, v0, 10, 10
	s_mul_i32 s3, ttmp7, s3
	v_and_b32_e32 v14, 0x3ff, v0
	s_add_co_i32 s4, s4, s3
	s_cmp_eq_u32 s2, 0
	v_mov_b64_e32 v[0:1], 0
	s_cselect_b32 s2, ttmp7, s4
	v_cmp_gt_u32_e64 s3, 3, v14
	v_lshl_add_u32 v6, s2, 4, v8
	s_cmp_ge_i32 s20, s11
	s_delay_alu instid0(VALU_DEP_1)
	v_ashrrev_i32_e32 v7, 31, v6
	v_cmp_gt_i32_e64 s2, s19, v6
	s_cbranch_scc1 .LBB19_17
; %bb.8:
	v_mul_u64_e32 v[0:1], s[8:9], v[6:7]
	s_clause 0x1
	s_load_b64 s[22:23], s[0:1], 0x38
	s_load_b128 s[12:15], s[0:1], 0x20
	v_cmp_gt_u32_e32 vcc_lo, 2, v14
	v_cmp_gt_u32_e64 s4, 2, v8
	v_mul_u32_u24_e32 v12, 3, v8
	v_mad_u32_u24 v9, v8, 3, v14
	v_lshl_add_u32 v8, v14, 1, v8
	s_and_b32 s18, s2, vcc_lo
	s_and_b32 s19, s3, s4
	s_cmp_lg_u32 s17, 0x6f
	v_dual_lshlrev_b32 v15, 3, v9 :: v_dual_mov_b32 v11, 0
	s_cselect_b32 s17, -1, 0
	s_cmp_eq_u32 s16, 0
	v_lshlrev_b32_e32 v19, 3, v12
	s_cselect_b32 vcc_lo, -1, 0
	s_delay_alu instid0(SALU_CYCLE_1) | instskip(SKIP_3) | instid1(VALU_DEP_2)
	v_dual_lshlrev_b32 v10, 3, v14 :: v_dual_cndmask_b32 v8, v9, v8, vcc_lo
	s_ashr_i32 s21, s20, 31
	v_add_nc_u32_e32 v18, 0x180, v15
	s_lshl_b64 s[4:5], s[20:21], 2
	v_add_nc_u32_e32 v16, 0x180, v10
	v_mad_u32 v17, s20, 6, v8
	s_wait_kmcnt 0x0
	v_lshl_add_u64 v[8:9], v[6:7], 3, s[22:23]
	s_add_nc_u64 s[4:5], s[12:13], s[4:5]
	v_lshl_add_u64 v[0:1], v[0:1], 3, s[22:23]
	s_delay_alu instid0(VALU_DEP_1)
	v_add_nc_u64_e32 v[10:11], v[0:1], v[10:11]
	v_mov_b64_e32 v[0:1], 0
	s_branch .LBB19_10
.LBB19_9:                               ;   in Loop: Header=BB19_10 Depth=1
	s_or_b32 exec_lo, exec_lo, s12
	s_wait_dscnt 0x0
	s_barrier_signal -1
	s_barrier_wait -1
	ds_load_2addr_b64 v[20:23], v19 offset1:1
	ds_load_2addr_b64 v[24:27], v16 offset1:3
	v_add_nc_u32_e32 v17, 6, v17
	s_add_co_i32 s20, s20, 1
	s_add_nc_u64 s[4:5], s[4:5], 4
	s_cmp_ge_i32 s20, s11
	s_wait_dscnt 0x0
	s_barrier_signal -1
	s_barrier_wait -1
	v_fmac_f64_e32 v[0:1], v[24:25], v[20:21]
	s_delay_alu instid0(VALU_DEP_1)
	v_fmac_f64_e32 v[0:1], v[26:27], v[22:23]
	s_cbranch_scc1 .LBB19_17
.LBB19_10:                              ; =>This Inner Loop Header: Depth=1
	v_mov_b64_e32 v[12:13], 0
	s_and_saveexec_b32 s16, s18
	s_cbranch_execz .LBB19_15
; %bb.11:                               ;   in Loop: Header=BB19_10 Depth=1
	s_load_b32 s12, s[4:5], 0x0
	s_mov_b32 s13, -1
	s_and_b32 vcc_lo, exec_lo, s17
                                        ; implicit-def: $vgpr12_vgpr13
	s_wait_kmcnt 0x0
	s_sub_co_i32 s12, s12, s6
	s_delay_alu instid0(SALU_CYCLE_1)
	s_lshl_b32 s12, s12, 1
	s_cbranch_vccz .LBB19_13
; %bb.12:                               ;   in Loop: Header=BB19_10 Depth=1
	v_or_b32_e32 v12, s12, v14
	s_mov_b32 s13, 0
	s_delay_alu instid0(VALU_DEP_1) | instskip(NEXT) | instid1(VALU_DEP_1)
	v_ashrrev_i32_e32 v13, 31, v12
	v_mul_u64_e32 v[12:13], s[8:9], v[12:13]
	s_delay_alu instid0(VALU_DEP_1)
	v_lshl_add_u64 v[12:13], v[12:13], 3, v[8:9]
	global_load_b64 v[12:13], v[12:13], off
.LBB19_13:                              ;   in Loop: Header=BB19_10 Depth=1
	s_and_not1_b32 vcc_lo, exec_lo, s13
	s_cbranch_vccnz .LBB19_15
; %bb.14:                               ;   in Loop: Header=BB19_10 Depth=1
	s_ashr_i32 s13, s12, 31
	s_wait_loadcnt 0x0
	v_lshl_add_u64 v[12:13], s[12:13], 3, v[10:11]
	global_load_b64 v[12:13], v[12:13], off
.LBB19_15:                              ;   in Loop: Header=BB19_10 Depth=1
	s_wait_xcnt 0x0
	s_or_b32 exec_lo, exec_lo, s16
	s_wait_loadcnt 0x0
	ds_store_b64 v15, v[12:13]
	s_and_saveexec_b32 s12, s19
	s_cbranch_execz .LBB19_9
; %bb.16:                               ;   in Loop: Header=BB19_10 Depth=1
	global_load_b64 v[12:13], v17, s[14:15] scale_offset
	s_wait_loadcnt 0x0
	ds_store_b64 v18, v[12:13]
	s_branch .LBB19_9
.LBB19_17:
	s_load_b64 s[4:5], s[0:1], 0x50
	s_and_b32 s2, s7, s2
	s_delay_alu instid0(SALU_CYCLE_1) | instskip(NEXT) | instid1(SALU_CYCLE_1)
	s_and_b32 s2, s2, s3
	s_and_b32 exec_lo, exec_lo, s2
	s_cbranch_execz .LBB19_22
; %bb.18:
	s_wait_xcnt 0x0
	s_load_b64 s[0:1], s[0:1], 0x58
	s_delay_alu instid0(VALU_DEP_1) | instskip(SKIP_1) | instid1(VALU_DEP_1)
	v_mul_f64_e32 v[0:1], v[4:5], v[0:1]
	v_mad_u32 v4, s10, 3, v14
	v_ashrrev_i32_e32 v5, 31, v4
	s_wait_kmcnt 0x0
	v_mul_u64_e32 v[6:7], s[0:1], v[6:7]
	s_mov_b32 s0, exec_lo
	s_delay_alu instid0(VALU_DEP_1)
	v_lshl_add_u64 v[6:7], v[6:7], 3, s[4:5]
	v_cmpx_neq_f64_e32 0, v[2:3]
	s_xor_b32 s0, exec_lo, s0
	s_cbranch_execz .LBB19_20
; %bb.19:
	s_delay_alu instid0(VALU_DEP_2)
	v_lshl_add_u64 v[4:5], v[4:5], 3, v[6:7]
	global_load_b64 v[6:7], v[4:5], off
	s_wait_loadcnt 0x0
	v_fmac_f64_e32 v[0:1], v[2:3], v[6:7]
                                        ; implicit-def: $vgpr6_vgpr7
	global_store_b64 v[4:5], v[0:1], off
                                        ; implicit-def: $vgpr4
                                        ; implicit-def: $vgpr0_vgpr1
.LBB19_20:
	s_wait_xcnt 0x0
	s_and_not1_saveexec_b32 s0, s0
	s_cbranch_execz .LBB19_22
; %bb.21:
	v_lshl_add_u64 v[2:3], v[4:5], 3, v[6:7]
	global_store_b64 v[2:3], v[0:1], off
.LBB19_22:
	s_endpgm
	.section	.rodata,"a",@progbits
	.p2align	6, 0x0
	.amdhsa_kernel _ZN9rocsparseL29gebsrmm_small_blockdim_kernelILi3ELi2ELi3ELi16EdEEv20rocsparse_direction_20rocsparse_operation_iiNS_24const_host_device_scalarIT3_EEPKiS7_PKS4_iiS9_lS5_PS4_l21rocsparse_index_base_b
		.amdhsa_group_segment_fixed_size 456
		.amdhsa_private_segment_fixed_size 0
		.amdhsa_kernarg_size 104
		.amdhsa_user_sgpr_count 2
		.amdhsa_user_sgpr_dispatch_ptr 0
		.amdhsa_user_sgpr_queue_ptr 0
		.amdhsa_user_sgpr_kernarg_segment_ptr 1
		.amdhsa_user_sgpr_dispatch_id 0
		.amdhsa_user_sgpr_kernarg_preload_length 0
		.amdhsa_user_sgpr_kernarg_preload_offset 0
		.amdhsa_user_sgpr_private_segment_size 0
		.amdhsa_wavefront_size32 1
		.amdhsa_uses_dynamic_stack 0
		.amdhsa_enable_private_segment 0
		.amdhsa_system_sgpr_workgroup_id_x 1
		.amdhsa_system_sgpr_workgroup_id_y 1
		.amdhsa_system_sgpr_workgroup_id_z 0
		.amdhsa_system_sgpr_workgroup_info 0
		.amdhsa_system_vgpr_workitem_id 1
		.amdhsa_next_free_vgpr 28
		.amdhsa_next_free_sgpr 24
		.amdhsa_named_barrier_count 0
		.amdhsa_reserve_vcc 1
		.amdhsa_float_round_mode_32 0
		.amdhsa_float_round_mode_16_64 0
		.amdhsa_float_denorm_mode_32 3
		.amdhsa_float_denorm_mode_16_64 3
		.amdhsa_fp16_overflow 0
		.amdhsa_memory_ordered 1
		.amdhsa_forward_progress 1
		.amdhsa_inst_pref_size 8
		.amdhsa_round_robin_scheduling 0
		.amdhsa_exception_fp_ieee_invalid_op 0
		.amdhsa_exception_fp_denorm_src 0
		.amdhsa_exception_fp_ieee_div_zero 0
		.amdhsa_exception_fp_ieee_overflow 0
		.amdhsa_exception_fp_ieee_underflow 0
		.amdhsa_exception_fp_ieee_inexact 0
		.amdhsa_exception_int_div_zero 0
	.end_amdhsa_kernel
	.section	.text._ZN9rocsparseL29gebsrmm_small_blockdim_kernelILi3ELi2ELi3ELi16EdEEv20rocsparse_direction_20rocsparse_operation_iiNS_24const_host_device_scalarIT3_EEPKiS7_PKS4_iiS9_lS5_PS4_l21rocsparse_index_base_b,"axG",@progbits,_ZN9rocsparseL29gebsrmm_small_blockdim_kernelILi3ELi2ELi3ELi16EdEEv20rocsparse_direction_20rocsparse_operation_iiNS_24const_host_device_scalarIT3_EEPKiS7_PKS4_iiS9_lS5_PS4_l21rocsparse_index_base_b,comdat
.Lfunc_end19:
	.size	_ZN9rocsparseL29gebsrmm_small_blockdim_kernelILi3ELi2ELi3ELi16EdEEv20rocsparse_direction_20rocsparse_operation_iiNS_24const_host_device_scalarIT3_EEPKiS7_PKS4_iiS9_lS5_PS4_l21rocsparse_index_base_b, .Lfunc_end19-_ZN9rocsparseL29gebsrmm_small_blockdim_kernelILi3ELi2ELi3ELi16EdEEv20rocsparse_direction_20rocsparse_operation_iiNS_24const_host_device_scalarIT3_EEPKiS7_PKS4_iiS9_lS5_PS4_l21rocsparse_index_base_b
                                        ; -- End function
	.set _ZN9rocsparseL29gebsrmm_small_blockdim_kernelILi3ELi2ELi3ELi16EdEEv20rocsparse_direction_20rocsparse_operation_iiNS_24const_host_device_scalarIT3_EEPKiS7_PKS4_iiS9_lS5_PS4_l21rocsparse_index_base_b.num_vgpr, 28
	.set _ZN9rocsparseL29gebsrmm_small_blockdim_kernelILi3ELi2ELi3ELi16EdEEv20rocsparse_direction_20rocsparse_operation_iiNS_24const_host_device_scalarIT3_EEPKiS7_PKS4_iiS9_lS5_PS4_l21rocsparse_index_base_b.num_agpr, 0
	.set _ZN9rocsparseL29gebsrmm_small_blockdim_kernelILi3ELi2ELi3ELi16EdEEv20rocsparse_direction_20rocsparse_operation_iiNS_24const_host_device_scalarIT3_EEPKiS7_PKS4_iiS9_lS5_PS4_l21rocsparse_index_base_b.numbered_sgpr, 24
	.set _ZN9rocsparseL29gebsrmm_small_blockdim_kernelILi3ELi2ELi3ELi16EdEEv20rocsparse_direction_20rocsparse_operation_iiNS_24const_host_device_scalarIT3_EEPKiS7_PKS4_iiS9_lS5_PS4_l21rocsparse_index_base_b.num_named_barrier, 0
	.set _ZN9rocsparseL29gebsrmm_small_blockdim_kernelILi3ELi2ELi3ELi16EdEEv20rocsparse_direction_20rocsparse_operation_iiNS_24const_host_device_scalarIT3_EEPKiS7_PKS4_iiS9_lS5_PS4_l21rocsparse_index_base_b.private_seg_size, 0
	.set _ZN9rocsparseL29gebsrmm_small_blockdim_kernelILi3ELi2ELi3ELi16EdEEv20rocsparse_direction_20rocsparse_operation_iiNS_24const_host_device_scalarIT3_EEPKiS7_PKS4_iiS9_lS5_PS4_l21rocsparse_index_base_b.uses_vcc, 1
	.set _ZN9rocsparseL29gebsrmm_small_blockdim_kernelILi3ELi2ELi3ELi16EdEEv20rocsparse_direction_20rocsparse_operation_iiNS_24const_host_device_scalarIT3_EEPKiS7_PKS4_iiS9_lS5_PS4_l21rocsparse_index_base_b.uses_flat_scratch, 0
	.set _ZN9rocsparseL29gebsrmm_small_blockdim_kernelILi3ELi2ELi3ELi16EdEEv20rocsparse_direction_20rocsparse_operation_iiNS_24const_host_device_scalarIT3_EEPKiS7_PKS4_iiS9_lS5_PS4_l21rocsparse_index_base_b.has_dyn_sized_stack, 0
	.set _ZN9rocsparseL29gebsrmm_small_blockdim_kernelILi3ELi2ELi3ELi16EdEEv20rocsparse_direction_20rocsparse_operation_iiNS_24const_host_device_scalarIT3_EEPKiS7_PKS4_iiS9_lS5_PS4_l21rocsparse_index_base_b.has_recursion, 0
	.set _ZN9rocsparseL29gebsrmm_small_blockdim_kernelILi3ELi2ELi3ELi16EdEEv20rocsparse_direction_20rocsparse_operation_iiNS_24const_host_device_scalarIT3_EEPKiS7_PKS4_iiS9_lS5_PS4_l21rocsparse_index_base_b.has_indirect_call, 0
	.section	.AMDGPU.csdata,"",@progbits
; Kernel info:
; codeLenInByte = 980
; TotalNumSgprs: 26
; NumVgprs: 28
; ScratchSize: 0
; MemoryBound: 0
; FloatMode: 240
; IeeeMode: 1
; LDSByteSize: 456 bytes/workgroup (compile time only)
; SGPRBlocks: 0
; VGPRBlocks: 1
; NumSGPRsForWavesPerEU: 26
; NumVGPRsForWavesPerEU: 28
; NamedBarCnt: 0
; Occupancy: 16
; WaveLimiterHint : 1
; COMPUTE_PGM_RSRC2:SCRATCH_EN: 0
; COMPUTE_PGM_RSRC2:USER_SGPR: 2
; COMPUTE_PGM_RSRC2:TRAP_HANDLER: 0
; COMPUTE_PGM_RSRC2:TGID_X_EN: 1
; COMPUTE_PGM_RSRC2:TGID_Y_EN: 1
; COMPUTE_PGM_RSRC2:TGID_Z_EN: 0
; COMPUTE_PGM_RSRC2:TIDIG_COMP_CNT: 1
	.section	.text._ZN9rocsparseL29gebsrmm_small_blockdim_kernelILi3ELi4ELi4ELi16EdEEv20rocsparse_direction_20rocsparse_operation_iiNS_24const_host_device_scalarIT3_EEPKiS7_PKS4_iiS9_lS5_PS4_l21rocsparse_index_base_b,"axG",@progbits,_ZN9rocsparseL29gebsrmm_small_blockdim_kernelILi3ELi4ELi4ELi16EdEEv20rocsparse_direction_20rocsparse_operation_iiNS_24const_host_device_scalarIT3_EEPKiS7_PKS4_iiS9_lS5_PS4_l21rocsparse_index_base_b,comdat
	.globl	_ZN9rocsparseL29gebsrmm_small_blockdim_kernelILi3ELi4ELi4ELi16EdEEv20rocsparse_direction_20rocsparse_operation_iiNS_24const_host_device_scalarIT3_EEPKiS7_PKS4_iiS9_lS5_PS4_l21rocsparse_index_base_b ; -- Begin function _ZN9rocsparseL29gebsrmm_small_blockdim_kernelILi3ELi4ELi4ELi16EdEEv20rocsparse_direction_20rocsparse_operation_iiNS_24const_host_device_scalarIT3_EEPKiS7_PKS4_iiS9_lS5_PS4_l21rocsparse_index_base_b
	.p2align	8
	.type	_ZN9rocsparseL29gebsrmm_small_blockdim_kernelILi3ELi4ELi4ELi16EdEEv20rocsparse_direction_20rocsparse_operation_iiNS_24const_host_device_scalarIT3_EEPKiS7_PKS4_iiS9_lS5_PS4_l21rocsparse_index_base_b,@function
_ZN9rocsparseL29gebsrmm_small_blockdim_kernelILi3ELi4ELi4ELi16EdEEv20rocsparse_direction_20rocsparse_operation_iiNS_24const_host_device_scalarIT3_EEPKiS7_PKS4_iiS9_lS5_PS4_l21rocsparse_index_base_b: ; @_ZN9rocsparseL29gebsrmm_small_blockdim_kernelILi3ELi4ELi4ELi16EdEEv20rocsparse_direction_20rocsparse_operation_iiNS_24const_host_device_scalarIT3_EEPKiS7_PKS4_iiS9_lS5_PS4_l21rocsparse_index_base_b
; %bb.0:
	s_clause 0x2
	s_load_b64 s[6:7], s[0:1], 0x60
	s_load_b64 s[2:3], s[0:1], 0x10
	s_load_b128 s[8:11], s[0:1], 0x40
	s_wait_kmcnt 0x0
	s_bitcmp1_b32 s7, 0
	v_mov_b64_e32 v[4:5], s[2:3]
	s_cselect_b32 s4, -1, 0
	s_delay_alu instid0(SALU_CYCLE_1)
	s_and_b32 vcc_lo, exec_lo, s4
	s_xor_b32 s4, s4, -1
	s_cbranch_vccnz .LBB20_2
; %bb.1:
	v_mov_b32_e32 v1, 0
	flat_load_b64 v[4:5], v1, s[2:3]
.LBB20_2:
	v_mov_b64_e32 v[2:3], s[10:11]
	s_and_not1_b32 vcc_lo, exec_lo, s4
	s_cbranch_vccnz .LBB20_4
; %bb.3:
	s_wait_xcnt 0x0
	v_mov_b32_e32 v1, 0
	flat_load_b64 v[2:3], v1, s[10:11]
.LBB20_4:
	s_wait_loadcnt_dscnt 0x0
	v_cmp_neq_f64_e32 vcc_lo, 0, v[4:5]
	s_delay_alu instid0(VALU_DEP_2) | instskip(SKIP_1) | instid1(SALU_CYCLE_1)
	v_cmp_neq_f64_e64 s2, 1.0, v[2:3]
	s_or_b32 s2, vcc_lo, s2
	s_and_saveexec_b32 s3, s2
	s_cbranch_execz .LBB20_22
; %bb.5:
	s_load_b128 s[16:19], s[0:1], 0x0
	s_bfe_u32 s2, ttmp6, 0x4000c
	s_and_b32 s3, ttmp6, 15
	s_add_co_i32 s2, s2, 1
	s_mov_b32 s20, 0
	s_mul_i32 s4, ttmp9, s2
	s_getreg_b32 s2, hwreg(HW_REG_IB_STS2, 6, 4)
	s_add_co_i32 s3, s3, s4
	s_cmp_eq_u32 s2, 0
	s_mov_b32 s11, 0
	s_cselect_b32 s10, ttmp9, s3
	s_wait_kmcnt 0x0
	s_cmp_lt_i32 s10, s18
	s_cselect_b32 s7, -1, 0
	s_cmp_ge_i32 s10, s18
	s_cbranch_scc1 .LBB20_7
; %bb.6:
	s_load_b64 s[4:5], s[0:1], 0x18
	s_ashr_i32 s11, s10, 31
	s_delay_alu instid0(SALU_CYCLE_1)
	s_lshl_b64 s[12:13], s[10:11], 2
	s_wait_kmcnt 0x0
	s_add_nc_u64 s[4:5], s[4:5], s[12:13]
	s_load_b64 s[12:13], s[4:5], 0x0
	s_wait_kmcnt 0x0
	s_sub_co_i32 s20, s12, s6
	s_sub_co_i32 s11, s13, s6
.LBB20_7:
	s_bfe_u32 s3, ttmp6, 0x40010
	s_bfe_u32 s4, ttmp6, 0x40004
	s_add_co_i32 s3, s3, 1
	v_bfe_u32 v12, v0, 10, 10
	s_mul_i32 s3, ttmp7, s3
	v_and_b32_e32 v14, 0x3ff, v0
	s_add_co_i32 s4, s4, s3
	s_cmp_eq_u32 s2, 0
	v_mov_b64_e32 v[0:1], 0
	s_cselect_b32 s2, ttmp7, s4
	v_cmp_gt_u32_e64 s3, 3, v14
	v_lshl_add_u32 v6, s2, 4, v12
	s_cmp_ge_i32 s20, s11
	s_delay_alu instid0(VALU_DEP_1)
	v_ashrrev_i32_e32 v7, 31, v6
	v_cmp_gt_i32_e64 s2, s19, v6
	s_cbranch_scc1 .LBB20_17
; %bb.8:
	v_mul_u64_e32 v[0:1], s[8:9], v[6:7]
	s_clause 0x1
	s_load_b64 s[22:23], s[0:1], 0x38
	s_load_b128 s[12:15], s[0:1], 0x20
	v_cmp_gt_u32_e32 vcc_lo, 4, v14
	v_cmp_gt_u32_e64 s4, 4, v12
	v_lshl_add_u32 v8, v12, 2, v14
	v_lshl_add_u32 v9, v14, 2, v12
	v_lshlrev_b32_e32 v10, 3, v14
	s_and_b32 s18, s2, vcc_lo
	s_and_b32 s19, s3, s4
	s_cmp_lg_u32 s17, 0x6f
	v_sub_nc_u32_e32 v11, v8, v12
	s_cselect_b32 s17, -1, 0
	s_cmp_eq_u32 s16, 0
	v_lshlrev_b32_e32 v15, 3, v8
	s_cselect_b32 vcc_lo, -1, 0
	v_dual_cndmask_b32 v9, v11, v9 :: v_dual_add_nc_u32 v16, 0x200, v10
	v_mov_b32_e32 v11, 0
	s_ashr_i32 s21, s20, 31
	v_add_nc_u32_e32 v18, 0x200, v15
	v_lshlrev_b32_e32 v19, 5, v12
	v_mad_u32 v17, s20, 12, v9
	s_wait_kmcnt 0x0
	v_lshl_add_u64 v[8:9], v[6:7], 3, s[22:23]
	s_lshl_b64 s[4:5], s[20:21], 2
	s_delay_alu instid0(SALU_CYCLE_1) | instskip(SKIP_1) | instid1(VALU_DEP_1)
	s_add_nc_u64 s[4:5], s[12:13], s[4:5]
	v_lshl_add_u64 v[0:1], v[0:1], 3, s[22:23]
	v_add_nc_u64_e32 v[10:11], v[0:1], v[10:11]
	v_mov_b64_e32 v[0:1], 0
	s_branch .LBB20_10
.LBB20_9:                               ;   in Loop: Header=BB20_10 Depth=1
	s_or_b32 exec_lo, exec_lo, s12
	s_wait_dscnt 0x0
	s_barrier_signal -1
	s_barrier_wait -1
	ds_load_2addr_b64 v[20:23], v16 offset1:4
	ds_load_b128 v[24:27], v19
	ds_load_b128 v[28:31], v19 offset:16
	v_add_nc_u32_e32 v17, 12, v17
	s_add_co_i32 s20, s20, 1
	s_add_nc_u64 s[4:5], s[4:5], 4
	s_cmp_ge_i32 s20, s11
	s_wait_dscnt 0x1
	v_fmac_f64_e32 v[0:1], v[20:21], v[24:25]
	s_delay_alu instid0(VALU_DEP_1)
	v_fmac_f64_e32 v[0:1], v[22:23], v[26:27]
	ds_load_2addr_b64 v[20:23], v16 offset0:8 offset1:12
	s_wait_dscnt 0x0
	s_barrier_signal -1
	s_barrier_wait -1
	v_fmac_f64_e32 v[0:1], v[20:21], v[28:29]
	s_delay_alu instid0(VALU_DEP_1)
	v_fmac_f64_e32 v[0:1], v[22:23], v[30:31]
	s_cbranch_scc1 .LBB20_17
.LBB20_10:                              ; =>This Inner Loop Header: Depth=1
	v_mov_b64_e32 v[12:13], 0
	s_and_saveexec_b32 s16, s18
	s_cbranch_execz .LBB20_15
; %bb.11:                               ;   in Loop: Header=BB20_10 Depth=1
	s_load_b32 s12, s[4:5], 0x0
	s_mov_b32 s13, -1
	s_and_b32 vcc_lo, exec_lo, s17
                                        ; implicit-def: $vgpr12_vgpr13
	s_wait_kmcnt 0x0
	s_sub_co_i32 s12, s12, s6
	s_delay_alu instid0(SALU_CYCLE_1)
	s_lshl_b32 s12, s12, 2
	s_cbranch_vccz .LBB20_13
; %bb.12:                               ;   in Loop: Header=BB20_10 Depth=1
	v_or_b32_e32 v12, s12, v14
	s_mov_b32 s13, 0
	s_delay_alu instid0(VALU_DEP_1) | instskip(NEXT) | instid1(VALU_DEP_1)
	v_ashrrev_i32_e32 v13, 31, v12
	v_mul_u64_e32 v[12:13], s[8:9], v[12:13]
	s_delay_alu instid0(VALU_DEP_1)
	v_lshl_add_u64 v[12:13], v[12:13], 3, v[8:9]
	global_load_b64 v[12:13], v[12:13], off
.LBB20_13:                              ;   in Loop: Header=BB20_10 Depth=1
	s_and_not1_b32 vcc_lo, exec_lo, s13
	s_cbranch_vccnz .LBB20_15
; %bb.14:                               ;   in Loop: Header=BB20_10 Depth=1
	s_ashr_i32 s13, s12, 31
	s_wait_loadcnt 0x0
	v_lshl_add_u64 v[12:13], s[12:13], 3, v[10:11]
	global_load_b64 v[12:13], v[12:13], off
.LBB20_15:                              ;   in Loop: Header=BB20_10 Depth=1
	s_wait_xcnt 0x0
	s_or_b32 exec_lo, exec_lo, s16
	s_wait_loadcnt 0x0
	ds_store_b64 v15, v[12:13]
	s_and_saveexec_b32 s12, s19
	s_cbranch_execz .LBB20_9
; %bb.16:                               ;   in Loop: Header=BB20_10 Depth=1
	global_load_b64 v[12:13], v17, s[14:15] scale_offset
	s_wait_loadcnt 0x0
	ds_store_b64 v18, v[12:13]
	s_branch .LBB20_9
.LBB20_17:
	s_load_b64 s[4:5], s[0:1], 0x50
	s_and_b32 s2, s7, s2
	s_delay_alu instid0(SALU_CYCLE_1) | instskip(NEXT) | instid1(SALU_CYCLE_1)
	s_and_b32 s2, s2, s3
	s_and_b32 exec_lo, exec_lo, s2
	s_cbranch_execz .LBB20_22
; %bb.18:
	s_wait_xcnt 0x0
	s_load_b64 s[0:1], s[0:1], 0x58
	s_delay_alu instid0(VALU_DEP_1) | instskip(SKIP_1) | instid1(VALU_DEP_1)
	v_mul_f64_e32 v[0:1], v[4:5], v[0:1]
	v_mad_u32 v4, s10, 3, v14
	v_ashrrev_i32_e32 v5, 31, v4
	s_wait_kmcnt 0x0
	v_mul_u64_e32 v[6:7], s[0:1], v[6:7]
	s_mov_b32 s0, exec_lo
	s_delay_alu instid0(VALU_DEP_1)
	v_lshl_add_u64 v[6:7], v[6:7], 3, s[4:5]
	v_cmpx_neq_f64_e32 0, v[2:3]
	s_xor_b32 s0, exec_lo, s0
	s_cbranch_execz .LBB20_20
; %bb.19:
	s_delay_alu instid0(VALU_DEP_2)
	v_lshl_add_u64 v[4:5], v[4:5], 3, v[6:7]
	global_load_b64 v[6:7], v[4:5], off
	s_wait_loadcnt 0x0
	v_fmac_f64_e32 v[0:1], v[2:3], v[6:7]
                                        ; implicit-def: $vgpr6_vgpr7
	global_store_b64 v[4:5], v[0:1], off
                                        ; implicit-def: $vgpr4
                                        ; implicit-def: $vgpr0_vgpr1
.LBB20_20:
	s_wait_xcnt 0x0
	s_and_not1_saveexec_b32 s0, s0
	s_cbranch_execz .LBB20_22
; %bb.21:
	v_lshl_add_u64 v[2:3], v[4:5], 3, v[6:7]
	global_store_b64 v[2:3], v[0:1], off
.LBB20_22:
	s_endpgm
	.section	.rodata,"a",@progbits
	.p2align	6, 0x0
	.amdhsa_kernel _ZN9rocsparseL29gebsrmm_small_blockdim_kernelILi3ELi4ELi4ELi16EdEEv20rocsparse_direction_20rocsparse_operation_iiNS_24const_host_device_scalarIT3_EEPKiS7_PKS4_iiS9_lS5_PS4_l21rocsparse_index_base_b
		.amdhsa_group_segment_fixed_size 640
		.amdhsa_private_segment_fixed_size 0
		.amdhsa_kernarg_size 104
		.amdhsa_user_sgpr_count 2
		.amdhsa_user_sgpr_dispatch_ptr 0
		.amdhsa_user_sgpr_queue_ptr 0
		.amdhsa_user_sgpr_kernarg_segment_ptr 1
		.amdhsa_user_sgpr_dispatch_id 0
		.amdhsa_user_sgpr_kernarg_preload_length 0
		.amdhsa_user_sgpr_kernarg_preload_offset 0
		.amdhsa_user_sgpr_private_segment_size 0
		.amdhsa_wavefront_size32 1
		.amdhsa_uses_dynamic_stack 0
		.amdhsa_enable_private_segment 0
		.amdhsa_system_sgpr_workgroup_id_x 1
		.amdhsa_system_sgpr_workgroup_id_y 1
		.amdhsa_system_sgpr_workgroup_id_z 0
		.amdhsa_system_sgpr_workgroup_info 0
		.amdhsa_system_vgpr_workitem_id 1
		.amdhsa_next_free_vgpr 32
		.amdhsa_next_free_sgpr 24
		.amdhsa_named_barrier_count 0
		.amdhsa_reserve_vcc 1
		.amdhsa_float_round_mode_32 0
		.amdhsa_float_round_mode_16_64 0
		.amdhsa_float_denorm_mode_32 3
		.amdhsa_float_denorm_mode_16_64 3
		.amdhsa_fp16_overflow 0
		.amdhsa_memory_ordered 1
		.amdhsa_forward_progress 1
		.amdhsa_inst_pref_size 8
		.amdhsa_round_robin_scheduling 0
		.amdhsa_exception_fp_ieee_invalid_op 0
		.amdhsa_exception_fp_denorm_src 0
		.amdhsa_exception_fp_ieee_div_zero 0
		.amdhsa_exception_fp_ieee_overflow 0
		.amdhsa_exception_fp_ieee_underflow 0
		.amdhsa_exception_fp_ieee_inexact 0
		.amdhsa_exception_int_div_zero 0
	.end_amdhsa_kernel
	.section	.text._ZN9rocsparseL29gebsrmm_small_blockdim_kernelILi3ELi4ELi4ELi16EdEEv20rocsparse_direction_20rocsparse_operation_iiNS_24const_host_device_scalarIT3_EEPKiS7_PKS4_iiS9_lS5_PS4_l21rocsparse_index_base_b,"axG",@progbits,_ZN9rocsparseL29gebsrmm_small_blockdim_kernelILi3ELi4ELi4ELi16EdEEv20rocsparse_direction_20rocsparse_operation_iiNS_24const_host_device_scalarIT3_EEPKiS7_PKS4_iiS9_lS5_PS4_l21rocsparse_index_base_b,comdat
.Lfunc_end20:
	.size	_ZN9rocsparseL29gebsrmm_small_blockdim_kernelILi3ELi4ELi4ELi16EdEEv20rocsparse_direction_20rocsparse_operation_iiNS_24const_host_device_scalarIT3_EEPKiS7_PKS4_iiS9_lS5_PS4_l21rocsparse_index_base_b, .Lfunc_end20-_ZN9rocsparseL29gebsrmm_small_blockdim_kernelILi3ELi4ELi4ELi16EdEEv20rocsparse_direction_20rocsparse_operation_iiNS_24const_host_device_scalarIT3_EEPKiS7_PKS4_iiS9_lS5_PS4_l21rocsparse_index_base_b
                                        ; -- End function
	.set _ZN9rocsparseL29gebsrmm_small_blockdim_kernelILi3ELi4ELi4ELi16EdEEv20rocsparse_direction_20rocsparse_operation_iiNS_24const_host_device_scalarIT3_EEPKiS7_PKS4_iiS9_lS5_PS4_l21rocsparse_index_base_b.num_vgpr, 32
	.set _ZN9rocsparseL29gebsrmm_small_blockdim_kernelILi3ELi4ELi4ELi16EdEEv20rocsparse_direction_20rocsparse_operation_iiNS_24const_host_device_scalarIT3_EEPKiS7_PKS4_iiS9_lS5_PS4_l21rocsparse_index_base_b.num_agpr, 0
	.set _ZN9rocsparseL29gebsrmm_small_blockdim_kernelILi3ELi4ELi4ELi16EdEEv20rocsparse_direction_20rocsparse_operation_iiNS_24const_host_device_scalarIT3_EEPKiS7_PKS4_iiS9_lS5_PS4_l21rocsparse_index_base_b.numbered_sgpr, 24
	.set _ZN9rocsparseL29gebsrmm_small_blockdim_kernelILi3ELi4ELi4ELi16EdEEv20rocsparse_direction_20rocsparse_operation_iiNS_24const_host_device_scalarIT3_EEPKiS7_PKS4_iiS9_lS5_PS4_l21rocsparse_index_base_b.num_named_barrier, 0
	.set _ZN9rocsparseL29gebsrmm_small_blockdim_kernelILi3ELi4ELi4ELi16EdEEv20rocsparse_direction_20rocsparse_operation_iiNS_24const_host_device_scalarIT3_EEPKiS7_PKS4_iiS9_lS5_PS4_l21rocsparse_index_base_b.private_seg_size, 0
	.set _ZN9rocsparseL29gebsrmm_small_blockdim_kernelILi3ELi4ELi4ELi16EdEEv20rocsparse_direction_20rocsparse_operation_iiNS_24const_host_device_scalarIT3_EEPKiS7_PKS4_iiS9_lS5_PS4_l21rocsparse_index_base_b.uses_vcc, 1
	.set _ZN9rocsparseL29gebsrmm_small_blockdim_kernelILi3ELi4ELi4ELi16EdEEv20rocsparse_direction_20rocsparse_operation_iiNS_24const_host_device_scalarIT3_EEPKiS7_PKS4_iiS9_lS5_PS4_l21rocsparse_index_base_b.uses_flat_scratch, 0
	.set _ZN9rocsparseL29gebsrmm_small_blockdim_kernelILi3ELi4ELi4ELi16EdEEv20rocsparse_direction_20rocsparse_operation_iiNS_24const_host_device_scalarIT3_EEPKiS7_PKS4_iiS9_lS5_PS4_l21rocsparse_index_base_b.has_dyn_sized_stack, 0
	.set _ZN9rocsparseL29gebsrmm_small_blockdim_kernelILi3ELi4ELi4ELi16EdEEv20rocsparse_direction_20rocsparse_operation_iiNS_24const_host_device_scalarIT3_EEPKiS7_PKS4_iiS9_lS5_PS4_l21rocsparse_index_base_b.has_recursion, 0
	.set _ZN9rocsparseL29gebsrmm_small_blockdim_kernelILi3ELi4ELi4ELi16EdEEv20rocsparse_direction_20rocsparse_operation_iiNS_24const_host_device_scalarIT3_EEPKiS7_PKS4_iiS9_lS5_PS4_l21rocsparse_index_base_b.has_indirect_call, 0
	.section	.AMDGPU.csdata,"",@progbits
; Kernel info:
; codeLenInByte = 1000
; TotalNumSgprs: 26
; NumVgprs: 32
; ScratchSize: 0
; MemoryBound: 0
; FloatMode: 240
; IeeeMode: 1
; LDSByteSize: 640 bytes/workgroup (compile time only)
; SGPRBlocks: 0
; VGPRBlocks: 1
; NumSGPRsForWavesPerEU: 26
; NumVGPRsForWavesPerEU: 32
; NamedBarCnt: 0
; Occupancy: 16
; WaveLimiterHint : 1
; COMPUTE_PGM_RSRC2:SCRATCH_EN: 0
; COMPUTE_PGM_RSRC2:USER_SGPR: 2
; COMPUTE_PGM_RSRC2:TRAP_HANDLER: 0
; COMPUTE_PGM_RSRC2:TGID_X_EN: 1
; COMPUTE_PGM_RSRC2:TGID_Y_EN: 1
; COMPUTE_PGM_RSRC2:TGID_Z_EN: 0
; COMPUTE_PGM_RSRC2:TIDIG_COMP_CNT: 1
	.section	.text._ZN9rocsparseL29gebsrmm_small_blockdim_kernelILi4ELi1ELi4ELi16EdEEv20rocsparse_direction_20rocsparse_operation_iiNS_24const_host_device_scalarIT3_EEPKiS7_PKS4_iiS9_lS5_PS4_l21rocsparse_index_base_b,"axG",@progbits,_ZN9rocsparseL29gebsrmm_small_blockdim_kernelILi4ELi1ELi4ELi16EdEEv20rocsparse_direction_20rocsparse_operation_iiNS_24const_host_device_scalarIT3_EEPKiS7_PKS4_iiS9_lS5_PS4_l21rocsparse_index_base_b,comdat
	.globl	_ZN9rocsparseL29gebsrmm_small_blockdim_kernelILi4ELi1ELi4ELi16EdEEv20rocsparse_direction_20rocsparse_operation_iiNS_24const_host_device_scalarIT3_EEPKiS7_PKS4_iiS9_lS5_PS4_l21rocsparse_index_base_b ; -- Begin function _ZN9rocsparseL29gebsrmm_small_blockdim_kernelILi4ELi1ELi4ELi16EdEEv20rocsparse_direction_20rocsparse_operation_iiNS_24const_host_device_scalarIT3_EEPKiS7_PKS4_iiS9_lS5_PS4_l21rocsparse_index_base_b
	.p2align	8
	.type	_ZN9rocsparseL29gebsrmm_small_blockdim_kernelILi4ELi1ELi4ELi16EdEEv20rocsparse_direction_20rocsparse_operation_iiNS_24const_host_device_scalarIT3_EEPKiS7_PKS4_iiS9_lS5_PS4_l21rocsparse_index_base_b,@function
_ZN9rocsparseL29gebsrmm_small_blockdim_kernelILi4ELi1ELi4ELi16EdEEv20rocsparse_direction_20rocsparse_operation_iiNS_24const_host_device_scalarIT3_EEPKiS7_PKS4_iiS9_lS5_PS4_l21rocsparse_index_base_b: ; @_ZN9rocsparseL29gebsrmm_small_blockdim_kernelILi4ELi1ELi4ELi16EdEEv20rocsparse_direction_20rocsparse_operation_iiNS_24const_host_device_scalarIT3_EEPKiS7_PKS4_iiS9_lS5_PS4_l21rocsparse_index_base_b
; %bb.0:
	s_clause 0x2
	s_load_b64 s[6:7], s[0:1], 0x60
	s_load_b64 s[2:3], s[0:1], 0x10
	s_load_b128 s[8:11], s[0:1], 0x40
	s_wait_kmcnt 0x0
	s_bitcmp1_b32 s7, 0
	v_mov_b64_e32 v[4:5], s[2:3]
	s_cselect_b32 s4, -1, 0
	s_delay_alu instid0(SALU_CYCLE_1)
	s_and_b32 vcc_lo, exec_lo, s4
	s_xor_b32 s4, s4, -1
	s_cbranch_vccnz .LBB21_2
; %bb.1:
	v_mov_b32_e32 v1, 0
	flat_load_b64 v[4:5], v1, s[2:3]
.LBB21_2:
	v_mov_b64_e32 v[2:3], s[10:11]
	s_and_not1_b32 vcc_lo, exec_lo, s4
	s_cbranch_vccnz .LBB21_4
; %bb.3:
	s_wait_xcnt 0x0
	v_mov_b32_e32 v1, 0
	flat_load_b64 v[2:3], v1, s[10:11]
.LBB21_4:
	s_wait_loadcnt_dscnt 0x0
	v_cmp_neq_f64_e32 vcc_lo, 0, v[4:5]
	s_delay_alu instid0(VALU_DEP_2) | instskip(SKIP_1) | instid1(SALU_CYCLE_1)
	v_cmp_neq_f64_e64 s2, 1.0, v[2:3]
	s_or_b32 s2, vcc_lo, s2
	s_and_saveexec_b32 s3, s2
	s_cbranch_execz .LBB21_22
; %bb.5:
	s_load_b96 s[16:18], s[0:1], 0x4
	s_bfe_u32 s2, ttmp6, 0x4000c
	s_and_b32 s3, ttmp6, 15
	s_add_co_i32 s2, s2, 1
	s_mov_b32 s20, 0
	s_mul_i32 s4, ttmp9, s2
	s_getreg_b32 s2, hwreg(HW_REG_IB_STS2, 6, 4)
	s_add_co_i32 s3, s3, s4
	s_cmp_eq_u32 s2, 0
	s_mov_b32 s11, 0
	s_cselect_b32 s10, ttmp9, s3
	s_wait_kmcnt 0x0
	s_cmp_lt_i32 s10, s17
	s_cselect_b32 s7, -1, 0
	s_cmp_ge_i32 s10, s17
	s_cbranch_scc1 .LBB21_7
; %bb.6:
	s_load_b64 s[4:5], s[0:1], 0x18
	s_ashr_i32 s11, s10, 31
	s_delay_alu instid0(SALU_CYCLE_1)
	s_lshl_b64 s[12:13], s[10:11], 2
	s_wait_kmcnt 0x0
	s_add_nc_u64 s[4:5], s[4:5], s[12:13]
	s_load_b64 s[12:13], s[4:5], 0x0
	s_wait_kmcnt 0x0
	s_sub_co_i32 s20, s12, s6
	s_sub_co_i32 s11, s13, s6
.LBB21_7:
	s_bfe_u32 s3, ttmp6, 0x40010
	s_bfe_u32 s4, ttmp6, 0x40004
	s_add_co_i32 s3, s3, 1
	v_bfe_u32 v8, v0, 10, 10
	s_mul_i32 s3, ttmp7, s3
	v_and_b32_e32 v14, 0x3ff, v0
	s_add_co_i32 s4, s4, s3
	s_cmp_eq_u32 s2, 0
	v_mov_b64_e32 v[0:1], 0
	s_cselect_b32 s2, ttmp7, s4
	v_cmp_gt_u32_e64 s3, 4, v14
	v_lshl_add_u32 v6, s2, 4, v8
	s_cmp_ge_i32 s20, s11
	s_delay_alu instid0(VALU_DEP_1)
	v_ashrrev_i32_e32 v7, 31, v6
	v_cmp_gt_i32_e64 s2, s18, v6
	s_cbranch_scc1 .LBB21_17
; %bb.8:
	v_mul_u64_e32 v[10:11], s[8:9], v[6:7]
	s_clause 0x1
	s_load_b64 s[22:23], s[0:1], 0x38
	s_load_b128 s[12:15], s[0:1], 0x20
	v_dual_lshlrev_b32 v0, 2, v8 :: v_dual_lshlrev_b32 v16, 5, v8
	v_cmp_eq_u32_e32 vcc_lo, 0, v14
	v_cmp_eq_u32_e64 s4, 0, v8
	v_lshl_add_u32 v15, v14, 3, 0x200
	s_delay_alu instid0(VALU_DEP_4)
	v_add_lshl_u32 v17, v0, v14, 3
	v_mov_b64_e32 v[0:1], 0
	s_and_b32 s17, vcc_lo, s2
	s_and_b32 s18, s3, s4
	s_cmp_lg_u32 s16, 0x6f
	v_add_nc_u32_e32 v18, 0x200, v17
	s_cselect_b32 s16, -1, 0
	s_ashr_i32 s21, s20, 31
	v_lshl_add_u32 v19, s20, 2, v14
	s_lshl_b64 s[4:5], s[20:21], 2
	s_wait_kmcnt 0x0
	v_lshl_add_u64 v[8:9], v[6:7], 3, s[22:23]
	s_add_nc_u64 s[4:5], s[12:13], s[4:5]
	v_lshl_add_u64 v[10:11], v[10:11], 3, s[22:23]
	s_branch .LBB21_10
.LBB21_9:                               ;   in Loop: Header=BB21_10 Depth=1
	s_or_b32 exec_lo, exec_lo, s12
	s_wait_dscnt 0x0
	s_barrier_signal -1
	s_barrier_wait -1
	ds_load_b64 v[12:13], v15
	ds_load_b64 v[20:21], v16
	v_add_nc_u32_e32 v19, 4, v19
	s_add_co_i32 s20, s20, 1
	s_add_nc_u64 s[4:5], s[4:5], 4
	s_cmp_ge_i32 s20, s11
	s_wait_dscnt 0x0
	s_barrier_signal -1
	s_barrier_wait -1
	v_fmac_f64_e32 v[0:1], v[12:13], v[20:21]
	s_cbranch_scc1 .LBB21_17
.LBB21_10:                              ; =>This Inner Loop Header: Depth=1
	v_mov_b64_e32 v[12:13], 0
	s_and_saveexec_b32 s19, s17
	s_cbranch_execz .LBB21_15
; %bb.11:                               ;   in Loop: Header=BB21_10 Depth=1
	s_load_b32 s12, s[4:5], 0x0
	s_mov_b32 s21, -1
	s_and_b32 vcc_lo, exec_lo, s16
                                        ; implicit-def: $vgpr12_vgpr13
	s_wait_kmcnt 0x0
	s_sub_co_i32 s12, s12, s6
	s_delay_alu instid0(SALU_CYCLE_1)
	s_ashr_i32 s13, s12, 31
	s_cbranch_vccz .LBB21_13
; %bb.12:                               ;   in Loop: Header=BB21_10 Depth=1
	s_mul_u64 s[22:23], s[8:9], s[12:13]
	s_mov_b32 s21, 0
	v_lshl_add_u64 v[12:13], s[22:23], 3, v[8:9]
	global_load_b64 v[12:13], v[12:13], off
.LBB21_13:                              ;   in Loop: Header=BB21_10 Depth=1
	s_and_not1_b32 vcc_lo, exec_lo, s21
	s_cbranch_vccnz .LBB21_15
; %bb.14:                               ;   in Loop: Header=BB21_10 Depth=1
	s_wait_loadcnt 0x0
	v_lshl_add_u64 v[12:13], s[12:13], 3, v[10:11]
	global_load_b64 v[12:13], v[12:13], off
.LBB21_15:                              ;   in Loop: Header=BB21_10 Depth=1
	s_wait_xcnt 0x0
	s_or_b32 exec_lo, exec_lo, s19
	s_wait_loadcnt 0x0
	ds_store_b64 v17, v[12:13]
	s_and_saveexec_b32 s12, s18
	s_cbranch_execz .LBB21_9
; %bb.16:                               ;   in Loop: Header=BB21_10 Depth=1
	global_load_b64 v[12:13], v19, s[14:15] scale_offset
	s_wait_loadcnt 0x0
	ds_store_b64 v18, v[12:13]
	s_branch .LBB21_9
.LBB21_17:
	s_load_b64 s[4:5], s[0:1], 0x50
	s_and_b32 s2, s7, s2
	s_delay_alu instid0(SALU_CYCLE_1) | instskip(NEXT) | instid1(SALU_CYCLE_1)
	s_and_b32 s2, s2, s3
	s_and_b32 exec_lo, exec_lo, s2
	s_cbranch_execz .LBB21_22
; %bb.18:
	s_wait_xcnt 0x0
	s_load_b64 s[0:1], s[0:1], 0x58
	s_delay_alu instid0(VALU_DEP_1) | instskip(SKIP_1) | instid1(VALU_DEP_1)
	v_mul_f64_e32 v[0:1], v[4:5], v[0:1]
	v_lshl_add_u32 v4, s10, 2, v14
	v_ashrrev_i32_e32 v5, 31, v4
	s_wait_kmcnt 0x0
	v_mul_u64_e32 v[6:7], s[0:1], v[6:7]
	s_mov_b32 s0, exec_lo
	s_delay_alu instid0(VALU_DEP_1)
	v_lshl_add_u64 v[6:7], v[6:7], 3, s[4:5]
	v_cmpx_neq_f64_e32 0, v[2:3]
	s_xor_b32 s0, exec_lo, s0
	s_cbranch_execz .LBB21_20
; %bb.19:
	s_delay_alu instid0(VALU_DEP_2)
	v_lshl_add_u64 v[4:5], v[4:5], 3, v[6:7]
	global_load_b64 v[6:7], v[4:5], off
	s_wait_loadcnt 0x0
	v_fmac_f64_e32 v[0:1], v[2:3], v[6:7]
                                        ; implicit-def: $vgpr6_vgpr7
	global_store_b64 v[4:5], v[0:1], off
                                        ; implicit-def: $vgpr4
                                        ; implicit-def: $vgpr0_vgpr1
.LBB21_20:
	s_wait_xcnt 0x0
	s_and_not1_saveexec_b32 s0, s0
	s_cbranch_execz .LBB21_22
; %bb.21:
	v_lshl_add_u64 v[2:3], v[4:5], 3, v[6:7]
	global_store_b64 v[2:3], v[0:1], off
.LBB21_22:
	s_endpgm
	.section	.rodata,"a",@progbits
	.p2align	6, 0x0
	.amdhsa_kernel _ZN9rocsparseL29gebsrmm_small_blockdim_kernelILi4ELi1ELi4ELi16EdEEv20rocsparse_direction_20rocsparse_operation_iiNS_24const_host_device_scalarIT3_EEPKiS7_PKS4_iiS9_lS5_PS4_l21rocsparse_index_base_b
		.amdhsa_group_segment_fixed_size 640
		.amdhsa_private_segment_fixed_size 0
		.amdhsa_kernarg_size 104
		.amdhsa_user_sgpr_count 2
		.amdhsa_user_sgpr_dispatch_ptr 0
		.amdhsa_user_sgpr_queue_ptr 0
		.amdhsa_user_sgpr_kernarg_segment_ptr 1
		.amdhsa_user_sgpr_dispatch_id 0
		.amdhsa_user_sgpr_kernarg_preload_length 0
		.amdhsa_user_sgpr_kernarg_preload_offset 0
		.amdhsa_user_sgpr_private_segment_size 0
		.amdhsa_wavefront_size32 1
		.amdhsa_uses_dynamic_stack 0
		.amdhsa_enable_private_segment 0
		.amdhsa_system_sgpr_workgroup_id_x 1
		.amdhsa_system_sgpr_workgroup_id_y 1
		.amdhsa_system_sgpr_workgroup_id_z 0
		.amdhsa_system_sgpr_workgroup_info 0
		.amdhsa_system_vgpr_workitem_id 1
		.amdhsa_next_free_vgpr 22
		.amdhsa_next_free_sgpr 24
		.amdhsa_named_barrier_count 0
		.amdhsa_reserve_vcc 1
		.amdhsa_float_round_mode_32 0
		.amdhsa_float_round_mode_16_64 0
		.amdhsa_float_denorm_mode_32 3
		.amdhsa_float_denorm_mode_16_64 3
		.amdhsa_fp16_overflow 0
		.amdhsa_memory_ordered 1
		.amdhsa_forward_progress 1
		.amdhsa_inst_pref_size 8
		.amdhsa_round_robin_scheduling 0
		.amdhsa_exception_fp_ieee_invalid_op 0
		.amdhsa_exception_fp_denorm_src 0
		.amdhsa_exception_fp_ieee_div_zero 0
		.amdhsa_exception_fp_ieee_overflow 0
		.amdhsa_exception_fp_ieee_underflow 0
		.amdhsa_exception_fp_ieee_inexact 0
		.amdhsa_exception_int_div_zero 0
	.end_amdhsa_kernel
	.section	.text._ZN9rocsparseL29gebsrmm_small_blockdim_kernelILi4ELi1ELi4ELi16EdEEv20rocsparse_direction_20rocsparse_operation_iiNS_24const_host_device_scalarIT3_EEPKiS7_PKS4_iiS9_lS5_PS4_l21rocsparse_index_base_b,"axG",@progbits,_ZN9rocsparseL29gebsrmm_small_blockdim_kernelILi4ELi1ELi4ELi16EdEEv20rocsparse_direction_20rocsparse_operation_iiNS_24const_host_device_scalarIT3_EEPKiS7_PKS4_iiS9_lS5_PS4_l21rocsparse_index_base_b,comdat
.Lfunc_end21:
	.size	_ZN9rocsparseL29gebsrmm_small_blockdim_kernelILi4ELi1ELi4ELi16EdEEv20rocsparse_direction_20rocsparse_operation_iiNS_24const_host_device_scalarIT3_EEPKiS7_PKS4_iiS9_lS5_PS4_l21rocsparse_index_base_b, .Lfunc_end21-_ZN9rocsparseL29gebsrmm_small_blockdim_kernelILi4ELi1ELi4ELi16EdEEv20rocsparse_direction_20rocsparse_operation_iiNS_24const_host_device_scalarIT3_EEPKiS7_PKS4_iiS9_lS5_PS4_l21rocsparse_index_base_b
                                        ; -- End function
	.set _ZN9rocsparseL29gebsrmm_small_blockdim_kernelILi4ELi1ELi4ELi16EdEEv20rocsparse_direction_20rocsparse_operation_iiNS_24const_host_device_scalarIT3_EEPKiS7_PKS4_iiS9_lS5_PS4_l21rocsparse_index_base_b.num_vgpr, 22
	.set _ZN9rocsparseL29gebsrmm_small_blockdim_kernelILi4ELi1ELi4ELi16EdEEv20rocsparse_direction_20rocsparse_operation_iiNS_24const_host_device_scalarIT3_EEPKiS7_PKS4_iiS9_lS5_PS4_l21rocsparse_index_base_b.num_agpr, 0
	.set _ZN9rocsparseL29gebsrmm_small_blockdim_kernelILi4ELi1ELi4ELi16EdEEv20rocsparse_direction_20rocsparse_operation_iiNS_24const_host_device_scalarIT3_EEPKiS7_PKS4_iiS9_lS5_PS4_l21rocsparse_index_base_b.numbered_sgpr, 24
	.set _ZN9rocsparseL29gebsrmm_small_blockdim_kernelILi4ELi1ELi4ELi16EdEEv20rocsparse_direction_20rocsparse_operation_iiNS_24const_host_device_scalarIT3_EEPKiS7_PKS4_iiS9_lS5_PS4_l21rocsparse_index_base_b.num_named_barrier, 0
	.set _ZN9rocsparseL29gebsrmm_small_blockdim_kernelILi4ELi1ELi4ELi16EdEEv20rocsparse_direction_20rocsparse_operation_iiNS_24const_host_device_scalarIT3_EEPKiS7_PKS4_iiS9_lS5_PS4_l21rocsparse_index_base_b.private_seg_size, 0
	.set _ZN9rocsparseL29gebsrmm_small_blockdim_kernelILi4ELi1ELi4ELi16EdEEv20rocsparse_direction_20rocsparse_operation_iiNS_24const_host_device_scalarIT3_EEPKiS7_PKS4_iiS9_lS5_PS4_l21rocsparse_index_base_b.uses_vcc, 1
	.set _ZN9rocsparseL29gebsrmm_small_blockdim_kernelILi4ELi1ELi4ELi16EdEEv20rocsparse_direction_20rocsparse_operation_iiNS_24const_host_device_scalarIT3_EEPKiS7_PKS4_iiS9_lS5_PS4_l21rocsparse_index_base_b.uses_flat_scratch, 0
	.set _ZN9rocsparseL29gebsrmm_small_blockdim_kernelILi4ELi1ELi4ELi16EdEEv20rocsparse_direction_20rocsparse_operation_iiNS_24const_host_device_scalarIT3_EEPKiS7_PKS4_iiS9_lS5_PS4_l21rocsparse_index_base_b.has_dyn_sized_stack, 0
	.set _ZN9rocsparseL29gebsrmm_small_blockdim_kernelILi4ELi1ELi4ELi16EdEEv20rocsparse_direction_20rocsparse_operation_iiNS_24const_host_device_scalarIT3_EEPKiS7_PKS4_iiS9_lS5_PS4_l21rocsparse_index_base_b.has_recursion, 0
	.set _ZN9rocsparseL29gebsrmm_small_blockdim_kernelILi4ELi1ELi4ELi16EdEEv20rocsparse_direction_20rocsparse_operation_iiNS_24const_host_device_scalarIT3_EEPKiS7_PKS4_iiS9_lS5_PS4_l21rocsparse_index_base_b.has_indirect_call, 0
	.section	.AMDGPU.csdata,"",@progbits
; Kernel info:
; codeLenInByte = 912
; TotalNumSgprs: 26
; NumVgprs: 22
; ScratchSize: 0
; MemoryBound: 0
; FloatMode: 240
; IeeeMode: 1
; LDSByteSize: 640 bytes/workgroup (compile time only)
; SGPRBlocks: 0
; VGPRBlocks: 1
; NumSGPRsForWavesPerEU: 26
; NumVGPRsForWavesPerEU: 22
; NamedBarCnt: 0
; Occupancy: 16
; WaveLimiterHint : 1
; COMPUTE_PGM_RSRC2:SCRATCH_EN: 0
; COMPUTE_PGM_RSRC2:USER_SGPR: 2
; COMPUTE_PGM_RSRC2:TRAP_HANDLER: 0
; COMPUTE_PGM_RSRC2:TGID_X_EN: 1
; COMPUTE_PGM_RSRC2:TGID_Y_EN: 1
; COMPUTE_PGM_RSRC2:TGID_Z_EN: 0
; COMPUTE_PGM_RSRC2:TIDIG_COMP_CNT: 1
	.section	.text._ZN9rocsparseL29gebsrmm_small_blockdim_kernelILi4ELi2ELi4ELi16EdEEv20rocsparse_direction_20rocsparse_operation_iiNS_24const_host_device_scalarIT3_EEPKiS7_PKS4_iiS9_lS5_PS4_l21rocsparse_index_base_b,"axG",@progbits,_ZN9rocsparseL29gebsrmm_small_blockdim_kernelILi4ELi2ELi4ELi16EdEEv20rocsparse_direction_20rocsparse_operation_iiNS_24const_host_device_scalarIT3_EEPKiS7_PKS4_iiS9_lS5_PS4_l21rocsparse_index_base_b,comdat
	.globl	_ZN9rocsparseL29gebsrmm_small_blockdim_kernelILi4ELi2ELi4ELi16EdEEv20rocsparse_direction_20rocsparse_operation_iiNS_24const_host_device_scalarIT3_EEPKiS7_PKS4_iiS9_lS5_PS4_l21rocsparse_index_base_b ; -- Begin function _ZN9rocsparseL29gebsrmm_small_blockdim_kernelILi4ELi2ELi4ELi16EdEEv20rocsparse_direction_20rocsparse_operation_iiNS_24const_host_device_scalarIT3_EEPKiS7_PKS4_iiS9_lS5_PS4_l21rocsparse_index_base_b
	.p2align	8
	.type	_ZN9rocsparseL29gebsrmm_small_blockdim_kernelILi4ELi2ELi4ELi16EdEEv20rocsparse_direction_20rocsparse_operation_iiNS_24const_host_device_scalarIT3_EEPKiS7_PKS4_iiS9_lS5_PS4_l21rocsparse_index_base_b,@function
_ZN9rocsparseL29gebsrmm_small_blockdim_kernelILi4ELi2ELi4ELi16EdEEv20rocsparse_direction_20rocsparse_operation_iiNS_24const_host_device_scalarIT3_EEPKiS7_PKS4_iiS9_lS5_PS4_l21rocsparse_index_base_b: ; @_ZN9rocsparseL29gebsrmm_small_blockdim_kernelILi4ELi2ELi4ELi16EdEEv20rocsparse_direction_20rocsparse_operation_iiNS_24const_host_device_scalarIT3_EEPKiS7_PKS4_iiS9_lS5_PS4_l21rocsparse_index_base_b
; %bb.0:
	s_clause 0x2
	s_load_b64 s[6:7], s[0:1], 0x60
	s_load_b64 s[2:3], s[0:1], 0x10
	s_load_b128 s[8:11], s[0:1], 0x40
	s_wait_kmcnt 0x0
	s_bitcmp1_b32 s7, 0
	v_mov_b64_e32 v[4:5], s[2:3]
	s_cselect_b32 s4, -1, 0
	s_delay_alu instid0(SALU_CYCLE_1)
	s_and_b32 vcc_lo, exec_lo, s4
	s_xor_b32 s4, s4, -1
	s_cbranch_vccnz .LBB22_2
; %bb.1:
	v_mov_b32_e32 v1, 0
	flat_load_b64 v[4:5], v1, s[2:3]
.LBB22_2:
	v_mov_b64_e32 v[2:3], s[10:11]
	s_and_not1_b32 vcc_lo, exec_lo, s4
	s_cbranch_vccnz .LBB22_4
; %bb.3:
	s_wait_xcnt 0x0
	v_mov_b32_e32 v1, 0
	flat_load_b64 v[2:3], v1, s[10:11]
.LBB22_4:
	s_wait_loadcnt_dscnt 0x0
	v_cmp_neq_f64_e32 vcc_lo, 0, v[4:5]
	s_delay_alu instid0(VALU_DEP_2) | instskip(SKIP_1) | instid1(SALU_CYCLE_1)
	v_cmp_neq_f64_e64 s2, 1.0, v[2:3]
	s_or_b32 s2, vcc_lo, s2
	s_and_saveexec_b32 s3, s2
	s_cbranch_execz .LBB22_22
; %bb.5:
	s_load_b128 s[16:19], s[0:1], 0x0
	s_bfe_u32 s2, ttmp6, 0x4000c
	s_and_b32 s3, ttmp6, 15
	s_add_co_i32 s2, s2, 1
	s_mov_b32 s20, 0
	s_mul_i32 s4, ttmp9, s2
	s_getreg_b32 s2, hwreg(HW_REG_IB_STS2, 6, 4)
	s_add_co_i32 s3, s3, s4
	s_cmp_eq_u32 s2, 0
	s_mov_b32 s11, 0
	s_cselect_b32 s10, ttmp9, s3
	s_wait_kmcnt 0x0
	s_cmp_lt_i32 s10, s18
	s_cselect_b32 s7, -1, 0
	s_cmp_ge_i32 s10, s18
	s_cbranch_scc1 .LBB22_7
; %bb.6:
	s_load_b64 s[4:5], s[0:1], 0x18
	s_ashr_i32 s11, s10, 31
	s_delay_alu instid0(SALU_CYCLE_1)
	s_lshl_b64 s[12:13], s[10:11], 2
	s_wait_kmcnt 0x0
	s_add_nc_u64 s[4:5], s[4:5], s[12:13]
	s_load_b64 s[12:13], s[4:5], 0x0
	s_wait_kmcnt 0x0
	s_sub_co_i32 s20, s12, s6
	s_sub_co_i32 s11, s13, s6
.LBB22_7:
	s_bfe_u32 s3, ttmp6, 0x40010
	s_bfe_u32 s4, ttmp6, 0x40004
	s_add_co_i32 s3, s3, 1
	v_bfe_u32 v8, v0, 10, 10
	s_mul_i32 s3, ttmp7, s3
	v_and_b32_e32 v14, 0x3ff, v0
	s_add_co_i32 s4, s4, s3
	s_cmp_eq_u32 s2, 0
	v_mov_b64_e32 v[0:1], 0
	s_cselect_b32 s2, ttmp7, s4
	v_cmp_gt_u32_e64 s3, 4, v14
	v_lshl_add_u32 v6, s2, 4, v8
	s_cmp_ge_i32 s20, s11
	s_delay_alu instid0(VALU_DEP_1)
	v_ashrrev_i32_e32 v7, 31, v6
	v_cmp_gt_i32_e64 s2, s19, v6
	s_cbranch_scc1 .LBB22_17
; %bb.8:
	v_mul_u64_e32 v[0:1], s[8:9], v[6:7]
	s_clause 0x1
	s_load_b64 s[22:23], s[0:1], 0x38
	s_load_b128 s[12:15], s[0:1], 0x20
	v_cmp_gt_u32_e32 vcc_lo, 2, v14
	v_cmp_gt_u32_e64 s4, 2, v8
	v_lshl_add_u32 v9, v8, 2, v14
	v_dual_mov_b32 v11, 0 :: v_dual_lshlrev_b32 v10, 3, v14
	s_and_b32 s18, s2, vcc_lo
	s_and_b32 s19, s3, s4
	s_cmp_lg_u32 s17, 0x6f
	v_lshl_add_u32 v12, v14, 1, v8
	s_cselect_b32 s17, -1, 0
	s_cmp_eq_u32 s16, 0
	v_dual_lshlrev_b32 v15, 5, v8 :: v_dual_lshlrev_b32 v16, 3, v9
	s_cselect_b32 vcc_lo, -1, 0
	v_dual_cndmask_b32 v12, v9, v12 :: v_dual_add_nc_u32 v17, 0x200, v10
	s_ashr_i32 s21, s20, 31
	s_delay_alu instid0(VALU_DEP_2)
	v_add_nc_u32_e32 v18, 0x200, v16
	s_wait_kmcnt 0x0
	v_lshl_add_u64 v[8:9], v[6:7], 3, s[22:23]
	s_lshl_b64 s[4:5], s[20:21], 2
	v_lshl_add_u32 v19, s20, 3, v12
	s_add_nc_u64 s[4:5], s[12:13], s[4:5]
	v_lshl_add_u64 v[0:1], v[0:1], 3, s[22:23]
	s_delay_alu instid0(VALU_DEP_1)
	v_add_nc_u64_e32 v[10:11], v[0:1], v[10:11]
	v_mov_b64_e32 v[0:1], 0
	s_branch .LBB22_10
.LBB22_9:                               ;   in Loop: Header=BB22_10 Depth=1
	s_or_b32 exec_lo, exec_lo, s12
	s_wait_dscnt 0x0
	s_barrier_signal -1
	s_barrier_wait -1
	ds_load_b128 v[20:23], v15
	ds_load_2addr_b64 v[24:27], v17 offset1:4
	v_add_nc_u32_e32 v19, 8, v19
	s_add_co_i32 s20, s20, 1
	s_add_nc_u64 s[4:5], s[4:5], 4
	s_cmp_ge_i32 s20, s11
	s_wait_dscnt 0x0
	s_barrier_signal -1
	s_barrier_wait -1
	v_fmac_f64_e32 v[0:1], v[24:25], v[20:21]
	s_delay_alu instid0(VALU_DEP_1)
	v_fmac_f64_e32 v[0:1], v[26:27], v[22:23]
	s_cbranch_scc1 .LBB22_17
.LBB22_10:                              ; =>This Inner Loop Header: Depth=1
	v_mov_b64_e32 v[12:13], 0
	s_and_saveexec_b32 s16, s18
	s_cbranch_execz .LBB22_15
; %bb.11:                               ;   in Loop: Header=BB22_10 Depth=1
	s_load_b32 s12, s[4:5], 0x0
	s_mov_b32 s13, -1
	s_and_b32 vcc_lo, exec_lo, s17
                                        ; implicit-def: $vgpr12_vgpr13
	s_wait_kmcnt 0x0
	s_sub_co_i32 s12, s12, s6
	s_delay_alu instid0(SALU_CYCLE_1)
	s_lshl_b32 s12, s12, 1
	s_cbranch_vccz .LBB22_13
; %bb.12:                               ;   in Loop: Header=BB22_10 Depth=1
	v_or_b32_e32 v12, s12, v14
	s_mov_b32 s13, 0
	s_delay_alu instid0(VALU_DEP_1) | instskip(NEXT) | instid1(VALU_DEP_1)
	v_ashrrev_i32_e32 v13, 31, v12
	v_mul_u64_e32 v[12:13], s[8:9], v[12:13]
	s_delay_alu instid0(VALU_DEP_1)
	v_lshl_add_u64 v[12:13], v[12:13], 3, v[8:9]
	global_load_b64 v[12:13], v[12:13], off
.LBB22_13:                              ;   in Loop: Header=BB22_10 Depth=1
	s_and_not1_b32 vcc_lo, exec_lo, s13
	s_cbranch_vccnz .LBB22_15
; %bb.14:                               ;   in Loop: Header=BB22_10 Depth=1
	s_ashr_i32 s13, s12, 31
	s_wait_loadcnt 0x0
	v_lshl_add_u64 v[12:13], s[12:13], 3, v[10:11]
	global_load_b64 v[12:13], v[12:13], off
.LBB22_15:                              ;   in Loop: Header=BB22_10 Depth=1
	s_wait_xcnt 0x0
	s_or_b32 exec_lo, exec_lo, s16
	s_wait_loadcnt 0x0
	ds_store_b64 v16, v[12:13]
	s_and_saveexec_b32 s12, s19
	s_cbranch_execz .LBB22_9
; %bb.16:                               ;   in Loop: Header=BB22_10 Depth=1
	global_load_b64 v[12:13], v19, s[14:15] scale_offset
	s_wait_loadcnt 0x0
	ds_store_b64 v18, v[12:13]
	s_branch .LBB22_9
.LBB22_17:
	s_load_b64 s[4:5], s[0:1], 0x50
	s_and_b32 s2, s7, s2
	s_delay_alu instid0(SALU_CYCLE_1) | instskip(NEXT) | instid1(SALU_CYCLE_1)
	s_and_b32 s2, s2, s3
	s_and_b32 exec_lo, exec_lo, s2
	s_cbranch_execz .LBB22_22
; %bb.18:
	s_wait_xcnt 0x0
	s_load_b64 s[0:1], s[0:1], 0x58
	s_delay_alu instid0(VALU_DEP_1) | instskip(SKIP_1) | instid1(VALU_DEP_1)
	v_mul_f64_e32 v[0:1], v[4:5], v[0:1]
	v_lshl_add_u32 v4, s10, 2, v14
	v_ashrrev_i32_e32 v5, 31, v4
	s_wait_kmcnt 0x0
	v_mul_u64_e32 v[6:7], s[0:1], v[6:7]
	s_mov_b32 s0, exec_lo
	s_delay_alu instid0(VALU_DEP_1)
	v_lshl_add_u64 v[6:7], v[6:7], 3, s[4:5]
	v_cmpx_neq_f64_e32 0, v[2:3]
	s_xor_b32 s0, exec_lo, s0
	s_cbranch_execz .LBB22_20
; %bb.19:
	s_delay_alu instid0(VALU_DEP_2)
	v_lshl_add_u64 v[4:5], v[4:5], 3, v[6:7]
	global_load_b64 v[6:7], v[4:5], off
	s_wait_loadcnt 0x0
	v_fmac_f64_e32 v[0:1], v[2:3], v[6:7]
                                        ; implicit-def: $vgpr6_vgpr7
	global_store_b64 v[4:5], v[0:1], off
                                        ; implicit-def: $vgpr4
                                        ; implicit-def: $vgpr0_vgpr1
.LBB22_20:
	s_wait_xcnt 0x0
	s_and_not1_saveexec_b32 s0, s0
	s_cbranch_execz .LBB22_22
; %bb.21:
	v_lshl_add_u64 v[2:3], v[4:5], 3, v[6:7]
	global_store_b64 v[2:3], v[0:1], off
.LBB22_22:
	s_endpgm
	.section	.rodata,"a",@progbits
	.p2align	6, 0x0
	.amdhsa_kernel _ZN9rocsparseL29gebsrmm_small_blockdim_kernelILi4ELi2ELi4ELi16EdEEv20rocsparse_direction_20rocsparse_operation_iiNS_24const_host_device_scalarIT3_EEPKiS7_PKS4_iiS9_lS5_PS4_l21rocsparse_index_base_b
		.amdhsa_group_segment_fixed_size 640
		.amdhsa_private_segment_fixed_size 0
		.amdhsa_kernarg_size 104
		.amdhsa_user_sgpr_count 2
		.amdhsa_user_sgpr_dispatch_ptr 0
		.amdhsa_user_sgpr_queue_ptr 0
		.amdhsa_user_sgpr_kernarg_segment_ptr 1
		.amdhsa_user_sgpr_dispatch_id 0
		.amdhsa_user_sgpr_kernarg_preload_length 0
		.amdhsa_user_sgpr_kernarg_preload_offset 0
		.amdhsa_user_sgpr_private_segment_size 0
		.amdhsa_wavefront_size32 1
		.amdhsa_uses_dynamic_stack 0
		.amdhsa_enable_private_segment 0
		.amdhsa_system_sgpr_workgroup_id_x 1
		.amdhsa_system_sgpr_workgroup_id_y 1
		.amdhsa_system_sgpr_workgroup_id_z 0
		.amdhsa_system_sgpr_workgroup_info 0
		.amdhsa_system_vgpr_workitem_id 1
		.amdhsa_next_free_vgpr 28
		.amdhsa_next_free_sgpr 24
		.amdhsa_named_barrier_count 0
		.amdhsa_reserve_vcc 1
		.amdhsa_float_round_mode_32 0
		.amdhsa_float_round_mode_16_64 0
		.amdhsa_float_denorm_mode_32 3
		.amdhsa_float_denorm_mode_16_64 3
		.amdhsa_fp16_overflow 0
		.amdhsa_memory_ordered 1
		.amdhsa_forward_progress 1
		.amdhsa_inst_pref_size 8
		.amdhsa_round_robin_scheduling 0
		.amdhsa_exception_fp_ieee_invalid_op 0
		.amdhsa_exception_fp_denorm_src 0
		.amdhsa_exception_fp_ieee_div_zero 0
		.amdhsa_exception_fp_ieee_overflow 0
		.amdhsa_exception_fp_ieee_underflow 0
		.amdhsa_exception_fp_ieee_inexact 0
		.amdhsa_exception_int_div_zero 0
	.end_amdhsa_kernel
	.section	.text._ZN9rocsparseL29gebsrmm_small_blockdim_kernelILi4ELi2ELi4ELi16EdEEv20rocsparse_direction_20rocsparse_operation_iiNS_24const_host_device_scalarIT3_EEPKiS7_PKS4_iiS9_lS5_PS4_l21rocsparse_index_base_b,"axG",@progbits,_ZN9rocsparseL29gebsrmm_small_blockdim_kernelILi4ELi2ELi4ELi16EdEEv20rocsparse_direction_20rocsparse_operation_iiNS_24const_host_device_scalarIT3_EEPKiS7_PKS4_iiS9_lS5_PS4_l21rocsparse_index_base_b,comdat
.Lfunc_end22:
	.size	_ZN9rocsparseL29gebsrmm_small_blockdim_kernelILi4ELi2ELi4ELi16EdEEv20rocsparse_direction_20rocsparse_operation_iiNS_24const_host_device_scalarIT3_EEPKiS7_PKS4_iiS9_lS5_PS4_l21rocsparse_index_base_b, .Lfunc_end22-_ZN9rocsparseL29gebsrmm_small_blockdim_kernelILi4ELi2ELi4ELi16EdEEv20rocsparse_direction_20rocsparse_operation_iiNS_24const_host_device_scalarIT3_EEPKiS7_PKS4_iiS9_lS5_PS4_l21rocsparse_index_base_b
                                        ; -- End function
	.set _ZN9rocsparseL29gebsrmm_small_blockdim_kernelILi4ELi2ELi4ELi16EdEEv20rocsparse_direction_20rocsparse_operation_iiNS_24const_host_device_scalarIT3_EEPKiS7_PKS4_iiS9_lS5_PS4_l21rocsparse_index_base_b.num_vgpr, 28
	.set _ZN9rocsparseL29gebsrmm_small_blockdim_kernelILi4ELi2ELi4ELi16EdEEv20rocsparse_direction_20rocsparse_operation_iiNS_24const_host_device_scalarIT3_EEPKiS7_PKS4_iiS9_lS5_PS4_l21rocsparse_index_base_b.num_agpr, 0
	.set _ZN9rocsparseL29gebsrmm_small_blockdim_kernelILi4ELi2ELi4ELi16EdEEv20rocsparse_direction_20rocsparse_operation_iiNS_24const_host_device_scalarIT3_EEPKiS7_PKS4_iiS9_lS5_PS4_l21rocsparse_index_base_b.numbered_sgpr, 24
	.set _ZN9rocsparseL29gebsrmm_small_blockdim_kernelILi4ELi2ELi4ELi16EdEEv20rocsparse_direction_20rocsparse_operation_iiNS_24const_host_device_scalarIT3_EEPKiS7_PKS4_iiS9_lS5_PS4_l21rocsparse_index_base_b.num_named_barrier, 0
	.set _ZN9rocsparseL29gebsrmm_small_blockdim_kernelILi4ELi2ELi4ELi16EdEEv20rocsparse_direction_20rocsparse_operation_iiNS_24const_host_device_scalarIT3_EEPKiS7_PKS4_iiS9_lS5_PS4_l21rocsparse_index_base_b.private_seg_size, 0
	.set _ZN9rocsparseL29gebsrmm_small_blockdim_kernelILi4ELi2ELi4ELi16EdEEv20rocsparse_direction_20rocsparse_operation_iiNS_24const_host_device_scalarIT3_EEPKiS7_PKS4_iiS9_lS5_PS4_l21rocsparse_index_base_b.uses_vcc, 1
	.set _ZN9rocsparseL29gebsrmm_small_blockdim_kernelILi4ELi2ELi4ELi16EdEEv20rocsparse_direction_20rocsparse_operation_iiNS_24const_host_device_scalarIT3_EEPKiS7_PKS4_iiS9_lS5_PS4_l21rocsparse_index_base_b.uses_flat_scratch, 0
	.set _ZN9rocsparseL29gebsrmm_small_blockdim_kernelILi4ELi2ELi4ELi16EdEEv20rocsparse_direction_20rocsparse_operation_iiNS_24const_host_device_scalarIT3_EEPKiS7_PKS4_iiS9_lS5_PS4_l21rocsparse_index_base_b.has_dyn_sized_stack, 0
	.set _ZN9rocsparseL29gebsrmm_small_blockdim_kernelILi4ELi2ELi4ELi16EdEEv20rocsparse_direction_20rocsparse_operation_iiNS_24const_host_device_scalarIT3_EEPKiS7_PKS4_iiS9_lS5_PS4_l21rocsparse_index_base_b.has_recursion, 0
	.set _ZN9rocsparseL29gebsrmm_small_blockdim_kernelILi4ELi2ELi4ELi16EdEEv20rocsparse_direction_20rocsparse_operation_iiNS_24const_host_device_scalarIT3_EEPKiS7_PKS4_iiS9_lS5_PS4_l21rocsparse_index_base_b.has_indirect_call, 0
	.section	.AMDGPU.csdata,"",@progbits
; Kernel info:
; codeLenInByte = 972
; TotalNumSgprs: 26
; NumVgprs: 28
; ScratchSize: 0
; MemoryBound: 0
; FloatMode: 240
; IeeeMode: 1
; LDSByteSize: 640 bytes/workgroup (compile time only)
; SGPRBlocks: 0
; VGPRBlocks: 1
; NumSGPRsForWavesPerEU: 26
; NumVGPRsForWavesPerEU: 28
; NamedBarCnt: 0
; Occupancy: 16
; WaveLimiterHint : 1
; COMPUTE_PGM_RSRC2:SCRATCH_EN: 0
; COMPUTE_PGM_RSRC2:USER_SGPR: 2
; COMPUTE_PGM_RSRC2:TRAP_HANDLER: 0
; COMPUTE_PGM_RSRC2:TGID_X_EN: 1
; COMPUTE_PGM_RSRC2:TGID_Y_EN: 1
; COMPUTE_PGM_RSRC2:TGID_Z_EN: 0
; COMPUTE_PGM_RSRC2:TIDIG_COMP_CNT: 1
	.section	.text._ZN9rocsparseL29gebsrmm_small_blockdim_kernelILi4ELi3ELi4ELi16EdEEv20rocsparse_direction_20rocsparse_operation_iiNS_24const_host_device_scalarIT3_EEPKiS7_PKS4_iiS9_lS5_PS4_l21rocsparse_index_base_b,"axG",@progbits,_ZN9rocsparseL29gebsrmm_small_blockdim_kernelILi4ELi3ELi4ELi16EdEEv20rocsparse_direction_20rocsparse_operation_iiNS_24const_host_device_scalarIT3_EEPKiS7_PKS4_iiS9_lS5_PS4_l21rocsparse_index_base_b,comdat
	.globl	_ZN9rocsparseL29gebsrmm_small_blockdim_kernelILi4ELi3ELi4ELi16EdEEv20rocsparse_direction_20rocsparse_operation_iiNS_24const_host_device_scalarIT3_EEPKiS7_PKS4_iiS9_lS5_PS4_l21rocsparse_index_base_b ; -- Begin function _ZN9rocsparseL29gebsrmm_small_blockdim_kernelILi4ELi3ELi4ELi16EdEEv20rocsparse_direction_20rocsparse_operation_iiNS_24const_host_device_scalarIT3_EEPKiS7_PKS4_iiS9_lS5_PS4_l21rocsparse_index_base_b
	.p2align	8
	.type	_ZN9rocsparseL29gebsrmm_small_blockdim_kernelILi4ELi3ELi4ELi16EdEEv20rocsparse_direction_20rocsparse_operation_iiNS_24const_host_device_scalarIT3_EEPKiS7_PKS4_iiS9_lS5_PS4_l21rocsparse_index_base_b,@function
_ZN9rocsparseL29gebsrmm_small_blockdim_kernelILi4ELi3ELi4ELi16EdEEv20rocsparse_direction_20rocsparse_operation_iiNS_24const_host_device_scalarIT3_EEPKiS7_PKS4_iiS9_lS5_PS4_l21rocsparse_index_base_b: ; @_ZN9rocsparseL29gebsrmm_small_blockdim_kernelILi4ELi3ELi4ELi16EdEEv20rocsparse_direction_20rocsparse_operation_iiNS_24const_host_device_scalarIT3_EEPKiS7_PKS4_iiS9_lS5_PS4_l21rocsparse_index_base_b
; %bb.0:
	s_clause 0x2
	s_load_b64 s[6:7], s[0:1], 0x60
	s_load_b64 s[2:3], s[0:1], 0x10
	s_load_b128 s[8:11], s[0:1], 0x40
	s_wait_kmcnt 0x0
	s_bitcmp1_b32 s7, 0
	v_mov_b64_e32 v[4:5], s[2:3]
	s_cselect_b32 s4, -1, 0
	s_delay_alu instid0(SALU_CYCLE_1)
	s_and_b32 vcc_lo, exec_lo, s4
	s_xor_b32 s4, s4, -1
	s_cbranch_vccnz .LBB23_2
; %bb.1:
	v_mov_b32_e32 v1, 0
	flat_load_b64 v[4:5], v1, s[2:3]
.LBB23_2:
	v_mov_b64_e32 v[2:3], s[10:11]
	s_and_not1_b32 vcc_lo, exec_lo, s4
	s_cbranch_vccnz .LBB23_4
; %bb.3:
	s_wait_xcnt 0x0
	v_mov_b32_e32 v1, 0
	flat_load_b64 v[2:3], v1, s[10:11]
.LBB23_4:
	s_wait_loadcnt_dscnt 0x0
	v_cmp_neq_f64_e32 vcc_lo, 0, v[4:5]
	s_delay_alu instid0(VALU_DEP_2) | instskip(SKIP_1) | instid1(SALU_CYCLE_1)
	v_cmp_neq_f64_e64 s2, 1.0, v[2:3]
	s_or_b32 s2, vcc_lo, s2
	s_and_saveexec_b32 s3, s2
	s_cbranch_execz .LBB23_22
; %bb.5:
	s_load_b128 s[16:19], s[0:1], 0x0
	s_bfe_u32 s2, ttmp6, 0x4000c
	s_and_b32 s3, ttmp6, 15
	s_add_co_i32 s2, s2, 1
	s_mov_b32 s20, 0
	s_mul_i32 s4, ttmp9, s2
	s_getreg_b32 s2, hwreg(HW_REG_IB_STS2, 6, 4)
	s_add_co_i32 s3, s3, s4
	s_cmp_eq_u32 s2, 0
	s_mov_b32 s11, 0
	s_cselect_b32 s10, ttmp9, s3
	s_wait_kmcnt 0x0
	s_cmp_lt_i32 s10, s18
	s_cselect_b32 s7, -1, 0
	s_cmp_ge_i32 s10, s18
	s_cbranch_scc1 .LBB23_7
; %bb.6:
	s_load_b64 s[4:5], s[0:1], 0x18
	s_ashr_i32 s11, s10, 31
	s_delay_alu instid0(SALU_CYCLE_1)
	s_lshl_b64 s[12:13], s[10:11], 2
	s_wait_kmcnt 0x0
	s_add_nc_u64 s[4:5], s[4:5], s[12:13]
	s_load_b64 s[12:13], s[4:5], 0x0
	s_wait_kmcnt 0x0
	s_sub_co_i32 s20, s12, s6
	s_sub_co_i32 s11, s13, s6
.LBB23_7:
	s_bfe_u32 s3, ttmp6, 0x40010
	s_bfe_u32 s4, ttmp6, 0x40004
	s_add_co_i32 s3, s3, 1
	v_bfe_u32 v12, v0, 10, 10
	s_mul_i32 s3, ttmp7, s3
	v_and_b32_e32 v14, 0x3ff, v0
	s_add_co_i32 s4, s4, s3
	s_cmp_eq_u32 s2, 0
	v_mov_b64_e32 v[0:1], 0
	s_cselect_b32 s2, ttmp7, s4
	v_cmp_gt_u32_e64 s3, 4, v14
	v_lshl_add_u32 v6, s2, 4, v12
	s_cmp_ge_i32 s20, s11
	s_delay_alu instid0(VALU_DEP_1)
	v_ashrrev_i32_e32 v7, 31, v6
	v_cmp_gt_i32_e64 s2, s19, v6
	s_cbranch_scc1 .LBB23_17
; %bb.8:
	v_mul_u64_e32 v[0:1], s[8:9], v[6:7]
	s_clause 0x1
	s_load_b64 s[22:23], s[0:1], 0x38
	s_load_b128 s[12:15], s[0:1], 0x20
	v_cmp_gt_u32_e32 vcc_lo, 3, v14
	v_cmp_gt_u32_e64 s4, 3, v12
	v_lshl_add_u32 v8, v12, 2, v14
	v_mad_u32_u24 v9, v14, 3, v12
	v_mov_b32_e32 v11, 0
	s_and_b32 s18, s2, vcc_lo
	s_and_b32 s19, s3, s4
	s_cmp_lg_u32 s17, 0x6f
	v_lshlrev_b32_e32 v15, 3, v8
	s_cselect_b32 s17, -1, 0
	s_cmp_eq_u32 s16, 0
	v_lshlrev_b32_e32 v19, 5, v12
	s_cselect_b32 vcc_lo, -1, 0
	v_dual_cndmask_b32 v9, v8, v9 :: v_dual_lshlrev_b32 v10, 3, v14
	s_ashr_i32 s21, s20, 31
	v_add_nc_u32_e32 v18, 0x200, v15
	s_lshl_b64 s[4:5], s[20:21], 2
	s_delay_alu instid0(VALU_DEP_2)
	v_add_nc_u32_e32 v16, 0x200, v10
	v_mad_u32 v17, s20, 12, v9
	s_wait_kmcnt 0x0
	v_lshl_add_u64 v[8:9], v[6:7], 3, s[22:23]
	s_add_nc_u64 s[4:5], s[12:13], s[4:5]
	v_lshl_add_u64 v[0:1], v[0:1], 3, s[22:23]
	s_delay_alu instid0(VALU_DEP_1)
	v_add_nc_u64_e32 v[10:11], v[0:1], v[10:11]
	v_mov_b64_e32 v[0:1], 0
	s_branch .LBB23_10
.LBB23_9:                               ;   in Loop: Header=BB23_10 Depth=1
	s_or_b32 exec_lo, exec_lo, s12
	s_wait_dscnt 0x0
	s_barrier_signal -1
	s_barrier_wait -1
	ds_load_2addr_b64 v[20:23], v16 offset1:4
	ds_load_b128 v[24:27], v19
	ds_load_b64 v[12:13], v16 offset:64
	v_add_nc_u32_e32 v17, 12, v17
	s_add_co_i32 s20, s20, 1
	s_add_nc_u64 s[4:5], s[4:5], 4
	s_cmp_ge_i32 s20, s11
	s_wait_dscnt 0x1
	v_fmac_f64_e32 v[0:1], v[20:21], v[24:25]
	ds_load_b64 v[20:21], v19 offset:16
	s_wait_dscnt 0x0
	s_barrier_signal -1
	s_barrier_wait -1
	v_fmac_f64_e32 v[0:1], v[22:23], v[26:27]
	s_delay_alu instid0(VALU_DEP_1)
	v_fmac_f64_e32 v[0:1], v[12:13], v[20:21]
	s_cbranch_scc1 .LBB23_17
.LBB23_10:                              ; =>This Inner Loop Header: Depth=1
	v_mov_b64_e32 v[12:13], 0
	s_and_saveexec_b32 s16, s18
	s_cbranch_execz .LBB23_15
; %bb.11:                               ;   in Loop: Header=BB23_10 Depth=1
	s_load_b32 s12, s[4:5], 0x0
	s_mov_b32 s13, -1
	s_and_b32 vcc_lo, exec_lo, s17
                                        ; implicit-def: $vgpr12_vgpr13
	s_wait_kmcnt 0x0
	s_sub_co_i32 s12, s12, s6
	s_delay_alu instid0(SALU_CYCLE_1)
	s_mul_i32 s12, s12, 3
	s_cbranch_vccz .LBB23_13
; %bb.12:                               ;   in Loop: Header=BB23_10 Depth=1
	v_add_nc_u32_e32 v12, s12, v14
	s_mov_b32 s13, 0
	s_delay_alu instid0(VALU_DEP_1) | instskip(NEXT) | instid1(VALU_DEP_1)
	v_ashrrev_i32_e32 v13, 31, v12
	v_mul_u64_e32 v[12:13], s[8:9], v[12:13]
	s_delay_alu instid0(VALU_DEP_1)
	v_lshl_add_u64 v[12:13], v[12:13], 3, v[8:9]
	global_load_b64 v[12:13], v[12:13], off
.LBB23_13:                              ;   in Loop: Header=BB23_10 Depth=1
	s_and_not1_b32 vcc_lo, exec_lo, s13
	s_cbranch_vccnz .LBB23_15
; %bb.14:                               ;   in Loop: Header=BB23_10 Depth=1
	s_ashr_i32 s13, s12, 31
	s_wait_loadcnt 0x0
	v_lshl_add_u64 v[12:13], s[12:13], 3, v[10:11]
	global_load_b64 v[12:13], v[12:13], off
.LBB23_15:                              ;   in Loop: Header=BB23_10 Depth=1
	s_wait_xcnt 0x0
	s_or_b32 exec_lo, exec_lo, s16
	s_wait_loadcnt 0x0
	ds_store_b64 v15, v[12:13]
	s_and_saveexec_b32 s12, s19
	s_cbranch_execz .LBB23_9
; %bb.16:                               ;   in Loop: Header=BB23_10 Depth=1
	global_load_b64 v[12:13], v17, s[14:15] scale_offset
	s_wait_loadcnt 0x0
	ds_store_b64 v18, v[12:13]
	s_branch .LBB23_9
.LBB23_17:
	s_load_b64 s[4:5], s[0:1], 0x50
	s_and_b32 s2, s7, s2
	s_delay_alu instid0(SALU_CYCLE_1) | instskip(NEXT) | instid1(SALU_CYCLE_1)
	s_and_b32 s2, s2, s3
	s_and_b32 exec_lo, exec_lo, s2
	s_cbranch_execz .LBB23_22
; %bb.18:
	s_wait_xcnt 0x0
	s_load_b64 s[0:1], s[0:1], 0x58
	s_delay_alu instid0(VALU_DEP_1) | instskip(SKIP_1) | instid1(VALU_DEP_1)
	v_mul_f64_e32 v[0:1], v[4:5], v[0:1]
	v_lshl_add_u32 v4, s10, 2, v14
	v_ashrrev_i32_e32 v5, 31, v4
	s_wait_kmcnt 0x0
	v_mul_u64_e32 v[6:7], s[0:1], v[6:7]
	s_mov_b32 s0, exec_lo
	s_delay_alu instid0(VALU_DEP_1)
	v_lshl_add_u64 v[6:7], v[6:7], 3, s[4:5]
	v_cmpx_neq_f64_e32 0, v[2:3]
	s_xor_b32 s0, exec_lo, s0
	s_cbranch_execz .LBB23_20
; %bb.19:
	s_delay_alu instid0(VALU_DEP_2)
	v_lshl_add_u64 v[4:5], v[4:5], 3, v[6:7]
	global_load_b64 v[6:7], v[4:5], off
	s_wait_loadcnt 0x0
	v_fmac_f64_e32 v[0:1], v[2:3], v[6:7]
                                        ; implicit-def: $vgpr6_vgpr7
	global_store_b64 v[4:5], v[0:1], off
                                        ; implicit-def: $vgpr4
                                        ; implicit-def: $vgpr0_vgpr1
.LBB23_20:
	s_wait_xcnt 0x0
	s_and_not1_saveexec_b32 s0, s0
	s_cbranch_execz .LBB23_22
; %bb.21:
	v_lshl_add_u64 v[2:3], v[4:5], 3, v[6:7]
	global_store_b64 v[2:3], v[0:1], off
.LBB23_22:
	s_endpgm
	.section	.rodata,"a",@progbits
	.p2align	6, 0x0
	.amdhsa_kernel _ZN9rocsparseL29gebsrmm_small_blockdim_kernelILi4ELi3ELi4ELi16EdEEv20rocsparse_direction_20rocsparse_operation_iiNS_24const_host_device_scalarIT3_EEPKiS7_PKS4_iiS9_lS5_PS4_l21rocsparse_index_base_b
		.amdhsa_group_segment_fixed_size 640
		.amdhsa_private_segment_fixed_size 0
		.amdhsa_kernarg_size 104
		.amdhsa_user_sgpr_count 2
		.amdhsa_user_sgpr_dispatch_ptr 0
		.amdhsa_user_sgpr_queue_ptr 0
		.amdhsa_user_sgpr_kernarg_segment_ptr 1
		.amdhsa_user_sgpr_dispatch_id 0
		.amdhsa_user_sgpr_kernarg_preload_length 0
		.amdhsa_user_sgpr_kernarg_preload_offset 0
		.amdhsa_user_sgpr_private_segment_size 0
		.amdhsa_wavefront_size32 1
		.amdhsa_uses_dynamic_stack 0
		.amdhsa_enable_private_segment 0
		.amdhsa_system_sgpr_workgroup_id_x 1
		.amdhsa_system_sgpr_workgroup_id_y 1
		.amdhsa_system_sgpr_workgroup_id_z 0
		.amdhsa_system_sgpr_workgroup_info 0
		.amdhsa_system_vgpr_workitem_id 1
		.amdhsa_next_free_vgpr 28
		.amdhsa_next_free_sgpr 24
		.amdhsa_named_barrier_count 0
		.amdhsa_reserve_vcc 1
		.amdhsa_float_round_mode_32 0
		.amdhsa_float_round_mode_16_64 0
		.amdhsa_float_denorm_mode_32 3
		.amdhsa_float_denorm_mode_16_64 3
		.amdhsa_fp16_overflow 0
		.amdhsa_memory_ordered 1
		.amdhsa_forward_progress 1
		.amdhsa_inst_pref_size 8
		.amdhsa_round_robin_scheduling 0
		.amdhsa_exception_fp_ieee_invalid_op 0
		.amdhsa_exception_fp_denorm_src 0
		.amdhsa_exception_fp_ieee_div_zero 0
		.amdhsa_exception_fp_ieee_overflow 0
		.amdhsa_exception_fp_ieee_underflow 0
		.amdhsa_exception_fp_ieee_inexact 0
		.amdhsa_exception_int_div_zero 0
	.end_amdhsa_kernel
	.section	.text._ZN9rocsparseL29gebsrmm_small_blockdim_kernelILi4ELi3ELi4ELi16EdEEv20rocsparse_direction_20rocsparse_operation_iiNS_24const_host_device_scalarIT3_EEPKiS7_PKS4_iiS9_lS5_PS4_l21rocsparse_index_base_b,"axG",@progbits,_ZN9rocsparseL29gebsrmm_small_blockdim_kernelILi4ELi3ELi4ELi16EdEEv20rocsparse_direction_20rocsparse_operation_iiNS_24const_host_device_scalarIT3_EEPKiS7_PKS4_iiS9_lS5_PS4_l21rocsparse_index_base_b,comdat
.Lfunc_end23:
	.size	_ZN9rocsparseL29gebsrmm_small_blockdim_kernelILi4ELi3ELi4ELi16EdEEv20rocsparse_direction_20rocsparse_operation_iiNS_24const_host_device_scalarIT3_EEPKiS7_PKS4_iiS9_lS5_PS4_l21rocsparse_index_base_b, .Lfunc_end23-_ZN9rocsparseL29gebsrmm_small_blockdim_kernelILi4ELi3ELi4ELi16EdEEv20rocsparse_direction_20rocsparse_operation_iiNS_24const_host_device_scalarIT3_EEPKiS7_PKS4_iiS9_lS5_PS4_l21rocsparse_index_base_b
                                        ; -- End function
	.set _ZN9rocsparseL29gebsrmm_small_blockdim_kernelILi4ELi3ELi4ELi16EdEEv20rocsparse_direction_20rocsparse_operation_iiNS_24const_host_device_scalarIT3_EEPKiS7_PKS4_iiS9_lS5_PS4_l21rocsparse_index_base_b.num_vgpr, 28
	.set _ZN9rocsparseL29gebsrmm_small_blockdim_kernelILi4ELi3ELi4ELi16EdEEv20rocsparse_direction_20rocsparse_operation_iiNS_24const_host_device_scalarIT3_EEPKiS7_PKS4_iiS9_lS5_PS4_l21rocsparse_index_base_b.num_agpr, 0
	.set _ZN9rocsparseL29gebsrmm_small_blockdim_kernelILi4ELi3ELi4ELi16EdEEv20rocsparse_direction_20rocsparse_operation_iiNS_24const_host_device_scalarIT3_EEPKiS7_PKS4_iiS9_lS5_PS4_l21rocsparse_index_base_b.numbered_sgpr, 24
	.set _ZN9rocsparseL29gebsrmm_small_blockdim_kernelILi4ELi3ELi4ELi16EdEEv20rocsparse_direction_20rocsparse_operation_iiNS_24const_host_device_scalarIT3_EEPKiS7_PKS4_iiS9_lS5_PS4_l21rocsparse_index_base_b.num_named_barrier, 0
	.set _ZN9rocsparseL29gebsrmm_small_blockdim_kernelILi4ELi3ELi4ELi16EdEEv20rocsparse_direction_20rocsparse_operation_iiNS_24const_host_device_scalarIT3_EEPKiS7_PKS4_iiS9_lS5_PS4_l21rocsparse_index_base_b.private_seg_size, 0
	.set _ZN9rocsparseL29gebsrmm_small_blockdim_kernelILi4ELi3ELi4ELi16EdEEv20rocsparse_direction_20rocsparse_operation_iiNS_24const_host_device_scalarIT3_EEPKiS7_PKS4_iiS9_lS5_PS4_l21rocsparse_index_base_b.uses_vcc, 1
	.set _ZN9rocsparseL29gebsrmm_small_blockdim_kernelILi4ELi3ELi4ELi16EdEEv20rocsparse_direction_20rocsparse_operation_iiNS_24const_host_device_scalarIT3_EEPKiS7_PKS4_iiS9_lS5_PS4_l21rocsparse_index_base_b.uses_flat_scratch, 0
	.set _ZN9rocsparseL29gebsrmm_small_blockdim_kernelILi4ELi3ELi4ELi16EdEEv20rocsparse_direction_20rocsparse_operation_iiNS_24const_host_device_scalarIT3_EEPKiS7_PKS4_iiS9_lS5_PS4_l21rocsparse_index_base_b.has_dyn_sized_stack, 0
	.set _ZN9rocsparseL29gebsrmm_small_blockdim_kernelILi4ELi3ELi4ELi16EdEEv20rocsparse_direction_20rocsparse_operation_iiNS_24const_host_device_scalarIT3_EEPKiS7_PKS4_iiS9_lS5_PS4_l21rocsparse_index_base_b.has_recursion, 0
	.set _ZN9rocsparseL29gebsrmm_small_blockdim_kernelILi4ELi3ELi4ELi16EdEEv20rocsparse_direction_20rocsparse_operation_iiNS_24const_host_device_scalarIT3_EEPKiS7_PKS4_iiS9_lS5_PS4_l21rocsparse_index_base_b.has_indirect_call, 0
	.section	.AMDGPU.csdata,"",@progbits
; Kernel info:
; codeLenInByte = 992
; TotalNumSgprs: 26
; NumVgprs: 28
; ScratchSize: 0
; MemoryBound: 0
; FloatMode: 240
; IeeeMode: 1
; LDSByteSize: 640 bytes/workgroup (compile time only)
; SGPRBlocks: 0
; VGPRBlocks: 1
; NumSGPRsForWavesPerEU: 26
; NumVGPRsForWavesPerEU: 28
; NamedBarCnt: 0
; Occupancy: 16
; WaveLimiterHint : 1
; COMPUTE_PGM_RSRC2:SCRATCH_EN: 0
; COMPUTE_PGM_RSRC2:USER_SGPR: 2
; COMPUTE_PGM_RSRC2:TRAP_HANDLER: 0
; COMPUTE_PGM_RSRC2:TGID_X_EN: 1
; COMPUTE_PGM_RSRC2:TGID_Y_EN: 1
; COMPUTE_PGM_RSRC2:TGID_Z_EN: 0
; COMPUTE_PGM_RSRC2:TIDIG_COMP_CNT: 1
	.section	.text._ZN9rocsparseL29gebsrmm_small_blockdim_kernelILi1ELi2ELi2ELi16E21rocsparse_complex_numIfEEEv20rocsparse_direction_20rocsparse_operation_iiNS_24const_host_device_scalarIT3_EEPKiS9_PKS6_iiSB_lS7_PS6_l21rocsparse_index_base_b,"axG",@progbits,_ZN9rocsparseL29gebsrmm_small_blockdim_kernelILi1ELi2ELi2ELi16E21rocsparse_complex_numIfEEEv20rocsparse_direction_20rocsparse_operation_iiNS_24const_host_device_scalarIT3_EEPKiS9_PKS6_iiSB_lS7_PS6_l21rocsparse_index_base_b,comdat
	.globl	_ZN9rocsparseL29gebsrmm_small_blockdim_kernelILi1ELi2ELi2ELi16E21rocsparse_complex_numIfEEEv20rocsparse_direction_20rocsparse_operation_iiNS_24const_host_device_scalarIT3_EEPKiS9_PKS6_iiSB_lS7_PS6_l21rocsparse_index_base_b ; -- Begin function _ZN9rocsparseL29gebsrmm_small_blockdim_kernelILi1ELi2ELi2ELi16E21rocsparse_complex_numIfEEEv20rocsparse_direction_20rocsparse_operation_iiNS_24const_host_device_scalarIT3_EEPKiS9_PKS6_iiSB_lS7_PS6_l21rocsparse_index_base_b
	.p2align	8
	.type	_ZN9rocsparseL29gebsrmm_small_blockdim_kernelILi1ELi2ELi2ELi16E21rocsparse_complex_numIfEEEv20rocsparse_direction_20rocsparse_operation_iiNS_24const_host_device_scalarIT3_EEPKiS9_PKS6_iiSB_lS7_PS6_l21rocsparse_index_base_b,@function
_ZN9rocsparseL29gebsrmm_small_blockdim_kernelILi1ELi2ELi2ELi16E21rocsparse_complex_numIfEEEv20rocsparse_direction_20rocsparse_operation_iiNS_24const_host_device_scalarIT3_EEPKiS9_PKS6_iiSB_lS7_PS6_l21rocsparse_index_base_b: ; @_ZN9rocsparseL29gebsrmm_small_blockdim_kernelILi1ELi2ELi2ELi16E21rocsparse_complex_numIfEEEv20rocsparse_direction_20rocsparse_operation_iiNS_24const_host_device_scalarIT3_EEPKiS9_PKS6_iiSB_lS7_PS6_l21rocsparse_index_base_b
; %bb.0:
	s_clause 0x2
	s_load_b64 s[6:7], s[0:1], 0x60
	s_load_b64 s[2:3], s[0:1], 0x10
	s_load_b128 s[8:11], s[0:1], 0x40
	v_mov_b32_e32 v1, 0
	s_add_nc_u64 s[4:5], s[0:1], 16
	s_add_nc_u64 s[12:13], s[0:1], 0x48
	s_mov_b32 s20, 0
	s_wait_kmcnt 0x0
	s_bitcmp1_b32 s7, 0
	s_cselect_b32 s3, s5, s3
	s_cselect_b32 s2, s4, s2
	;; [unrolled: 1-line block ×4, first 2 shown]
	s_clause 0x1
	flat_load_b64 v[2:3], v1, s[2:3]
	flat_load_b64 v[4:5], v1, s[4:5]
	s_wait_loadcnt_dscnt 0x101
	v_cmp_eq_f32_e32 vcc_lo, 0, v2
	v_cmp_eq_f32_e64 s3, 0, v3
	s_wait_loadcnt_dscnt 0x0
	v_cmp_eq_f32_e64 s4, 1.0, v4
	v_cmp_eq_f32_e64 s2, 0, v5
	s_and_b32 s3, vcc_lo, s3
	s_and_b32 s4, s4, s2
	s_delay_alu instid0(SALU_CYCLE_1) | instskip(NEXT) | instid1(SALU_CYCLE_1)
	s_and_b32 s3, s3, s4
	s_xor_b32 s3, s3, -1
	s_delay_alu instid0(SALU_CYCLE_1)
	s_and_saveexec_b32 s4, s3
	s_cbranch_execz .LBB24_20
; %bb.1:
	s_load_b96 s[16:18], s[0:1], 0x4
	s_bfe_u32 s3, ttmp6, 0x4000c
	s_and_b32 s4, ttmp6, 15
	s_add_co_i32 s3, s3, 1
	s_mov_b32 s7, 0
	s_mul_i32 s5, ttmp9, s3
	s_getreg_b32 s3, hwreg(HW_REG_IB_STS2, 6, 4)
	s_add_co_i32 s4, s4, s5
	s_cmp_eq_u32 s3, 0
	s_cselect_b32 s10, ttmp9, s4
	s_wait_kmcnt 0x0
	s_cmp_lt_i32 s10, s17
	s_cselect_b32 s19, -1, 0
	s_cmp_ge_i32 s10, s17
	s_cbranch_scc1 .LBB24_3
; %bb.2:
	s_load_b64 s[4:5], s[0:1], 0x18
	s_ashr_i32 s11, s10, 31
	s_delay_alu instid0(SALU_CYCLE_1)
	s_lshl_b64 s[12:13], s[10:11], 2
	s_wait_kmcnt 0x0
	s_add_nc_u64 s[4:5], s[4:5], s[12:13]
	s_load_b64 s[12:13], s[4:5], 0x0
	s_wait_kmcnt 0x0
	s_sub_co_i32 s20, s12, s6
	s_sub_co_i32 s7, s13, s6
.LBB24_3:
	s_bfe_u32 s4, ttmp6, 0x40010
	s_bfe_u32 s5, ttmp6, 0x40004
	s_add_co_i32 s4, s4, 1
	v_bfe_u32 v19, v0, 10, 10
	s_mul_i32 s4, ttmp7, s4
	v_and_b32_e32 v14, 0x3ff, v0
	s_add_co_i32 s5, s5, s4
	s_cmp_eq_u32 s3, 0
	s_cselect_b32 s3, ttmp7, s5
	s_cmp_ge_i32 s20, s7
	v_lshl_add_u32 v6, s3, 4, v19
	v_mov_b32_e32 v1, 0
	v_cmp_eq_u32_e64 s3, 0, v14
	s_delay_alu instid0(VALU_DEP_3) | instskip(SKIP_1) | instid1(VALU_DEP_4)
	v_ashrrev_i32_e32 v7, 31, v6
	v_cmp_gt_i32_e64 s4, s18, v6
	v_mov_b32_e32 v0, v1
	s_cbranch_scc1 .LBB24_15
; %bb.4:
	v_mul_u64_e32 v[8:9], s[8:9], v[6:7]
	s_clause 0x1
	s_load_b64 s[22:23], s[0:1], 0x38
	s_load_b128 s[12:15], s[0:1], 0x20
	v_dual_lshlrev_b32 v10, 1, v19 :: v_dual_lshlrev_b32 v0, 3, v14
	v_cmp_lt_u32_e32 vcc_lo, 1, v14
	v_cmp_gt_u32_e64 s5, 2, v19
	v_dual_mov_b32 v1, 0 :: v_dual_lshlrev_b32 v15, 4, v19
	s_delay_alu instid0(VALU_DEP_4)
	v_add_lshl_u32 v16, v10, v14, 3
	s_xor_b32 s11, s4, -1
	s_and_b32 s5, s3, s5
	s_or_b32 s11, s11, vcc_lo
	s_cmp_lg_u32 s16, 0x6f
	v_mov_b64_e32 v[12:13], 0
	s_cselect_b32 s18, -1, 0
	s_ashr_i32 s21, s20, 31
	v_add_nc_u32_e32 v17, 0x100, v0
	v_add_nc_u32_e32 v18, 0x100, v16
	v_lshl_add_u32 v19, s20, 1, v19
	s_lshl_b64 s[16:17], s[20:21], 2
	s_wait_kmcnt 0x0
	s_add_nc_u64 s[12:13], s[12:13], s[16:17]
	v_lshl_add_u64 v[10:11], v[8:9], 3, s[22:23]
	v_lshl_add_u64 v[8:9], v[6:7], 3, s[22:23]
	s_delay_alu instid0(VALU_DEP_2)
	v_add_nc_u64_e32 v[10:11], v[10:11], v[0:1]
	v_mov_b32_e32 v0, v1
	s_branch .LBB24_6
.LBB24_5:                               ;   in Loop: Header=BB24_6 Depth=1
	s_or_b32 exec_lo, exec_lo, s16
	s_wait_dscnt 0x0
	; wave barrier
	ds_load_b128 v[20:23], v15
	ds_load_2addr_b64 v[24:27], v17 offset1:2
	s_add_co_i32 s20, s20, 1
	s_add_nc_u64 s[12:13], s[12:13], 4
	s_cmp_ge_i32 s20, s7
	s_wait_dscnt 0x0
	; wave barrier
	v_add_nc_u32_e32 v19, 2, v19
	v_pk_fma_f32 v[0:1], v[24:25], v[20:21], v[0:1] op_sel_hi:[1,0,1]
	s_delay_alu instid0(VALU_DEP_1) | instskip(SKIP_1) | instid1(VALU_DEP_2)
	v_pk_fma_f32 v[0:1], v[24:25], v[20:21], v[0:1] op_sel:[1,1,0] op_sel_hi:[0,1,1] neg_lo:[1,0,0]
	v_mov_b32_e32 v20, v23
	v_pk_fma_f32 v[0:1], v[26:27], v[22:23], v[0:1] op_sel_hi:[1,0,1]
	s_delay_alu instid0(VALU_DEP_1)
	v_pk_fma_f32 v[0:1], v[26:27], v[20:21], v[0:1] op_sel:[1,0,0] op_sel_hi:[0,0,1] neg_lo:[1,0,0]
	s_cbranch_scc1 .LBB24_15
.LBB24_6:                               ; =>This Inner Loop Header: Depth=1
	s_and_saveexec_b32 s16, s11
	s_delay_alu instid0(SALU_CYCLE_1)
	s_xor_b32 s16, exec_lo, s16
; %bb.7:                                ;   in Loop: Header=BB24_6 Depth=1
	ds_store_b64 v16, v[12:13]
; %bb.8:                                ;   in Loop: Header=BB24_6 Depth=1
	s_and_not1_saveexec_b32 s21, s16
	s_cbranch_execz .LBB24_13
; %bb.9:                                ;   in Loop: Header=BB24_6 Depth=1
	s_load_b32 s16, s[12:13], 0x0
	s_mov_b32 s17, -1
	s_and_b32 vcc_lo, exec_lo, s18
	s_wait_kmcnt 0x0
	s_sub_co_i32 s16, s16, s6
	s_delay_alu instid0(SALU_CYCLE_1)
	s_lshl_b32 s16, s16, 1
	s_cbranch_vccz .LBB24_11
; %bb.10:                               ;   in Loop: Header=BB24_6 Depth=1
	v_or_b32_e32 v20, s16, v14
	s_mov_b32 s17, 0
	s_delay_alu instid0(VALU_DEP_1) | instskip(NEXT) | instid1(VALU_DEP_1)
	v_ashrrev_i32_e32 v21, 31, v20
	v_mul_u64_e32 v[20:21], s[8:9], v[20:21]
	s_delay_alu instid0(VALU_DEP_1)
	v_lshl_add_u64 v[20:21], v[20:21], 3, v[8:9]
	global_load_b64 v[20:21], v[20:21], off
	s_wait_loadcnt 0x0
	ds_store_b64 v16, v[20:21]
.LBB24_11:                              ;   in Loop: Header=BB24_6 Depth=1
	s_and_not1_b32 vcc_lo, exec_lo, s17
	s_cbranch_vccnz .LBB24_13
; %bb.12:                               ;   in Loop: Header=BB24_6 Depth=1
	s_ashr_i32 s17, s16, 31
	s_delay_alu instid0(SALU_CYCLE_1)
	v_lshl_add_u64 v[20:21], s[16:17], 3, v[10:11]
	global_load_b64 v[20:21], v[20:21], off
	s_wait_loadcnt 0x0
	ds_store_b64 v16, v[20:21]
.LBB24_13:                              ;   in Loop: Header=BB24_6 Depth=1
	s_or_b32 exec_lo, exec_lo, s21
	s_and_saveexec_b32 s16, s5
	s_cbranch_execz .LBB24_5
; %bb.14:                               ;   in Loop: Header=BB24_6 Depth=1
	global_load_b64 v[20:21], v19, s[14:15] scale_offset
	s_wait_loadcnt 0x0
	ds_store_b64 v18, v[20:21]
	s_branch .LBB24_5
.LBB24_15:
	s_load_b64 s[6:7], s[0:1], 0x50
	s_and_b32 s3, s3, s4
	s_delay_alu instid0(SALU_CYCLE_1) | instskip(NEXT) | instid1(SALU_CYCLE_1)
	s_and_b32 s3, s19, s3
	s_and_b32 exec_lo, exec_lo, s3
	s_cbranch_execz .LBB24_20
; %bb.16:
	s_wait_xcnt 0x0
	s_load_b64 s[0:1], s[0:1], 0x58
	v_cmp_neq_f32_e32 vcc_lo, 0, v4
	s_wait_kmcnt 0x0
	v_mul_u64_e32 v[8:9], s[0:1], v[6:7]
	v_add_nc_u32_e32 v6, s10, v14
	s_xor_b32 s0, s2, -1
	s_delay_alu instid0(SALU_CYCLE_1) | instskip(NEXT) | instid1(VALU_DEP_1)
	s_or_b32 s0, vcc_lo, s0
	v_ashrrev_i32_e32 v7, 31, v6
	s_delay_alu instid0(VALU_DEP_3) | instskip(SKIP_2) | instid1(SALU_CYCLE_1)
	v_lshl_add_u64 v[10:11], v[8:9], 3, s[6:7]
	v_xor_b32_e32 v8, 0x80000000, v3
	s_and_saveexec_b32 s1, s0
	s_xor_b32 s0, exec_lo, s1
	s_cbranch_execz .LBB24_18
; %bb.17:
	v_lshl_add_u64 v[6:7], v[6:7], 3, v[10:11]
	v_mov_b32_e32 v9, v2
	global_load_b64 v[10:11], v[6:7], off
	v_pk_mul_f32 v[8:9], v[0:1], v[8:9] op_sel:[1,0]
	s_delay_alu instid0(VALU_DEP_1) | instskip(SKIP_3) | instid1(VALU_DEP_3)
	v_pk_fma_f32 v[0:1], v[2:3], v[0:1], v[8:9] op_sel_hi:[1,0,1]
	v_xor_b32_e32 v2, 0x80000000, v5
	v_mov_b32_e32 v3, v4
                                        ; implicit-def: $vgpr8
	s_wait_loadcnt 0x0
	v_pk_fma_f32 v[0:1], v[4:5], v[10:11], v[0:1] op_sel_hi:[1,0,1]
	s_delay_alu instid0(VALU_DEP_1)
	v_pk_fma_f32 v[0:1], v[2:3], v[10:11], v[0:1] op_sel:[0,1,0]
                                        ; implicit-def: $vgpr10_vgpr11
                                        ; implicit-def: $vgpr2_vgpr3
	global_store_b64 v[6:7], v[0:1], off
                                        ; implicit-def: $vgpr6
                                        ; implicit-def: $vgpr0_vgpr1
.LBB24_18:
	s_wait_xcnt 0x0
	s_and_not1_saveexec_b32 s0, s0
	s_cbranch_execz .LBB24_20
; %bb.19:
	v_mov_b32_e32 v9, v2
	v_lshl_add_u64 v[6:7], v[6:7], 3, v[10:11]
	s_delay_alu instid0(VALU_DEP_2) | instskip(NEXT) | instid1(VALU_DEP_1)
	v_pk_mul_f32 v[4:5], v[0:1], v[8:9] op_sel:[1,0]
	v_pk_fma_f32 v[0:1], v[2:3], v[0:1], v[4:5] op_sel_hi:[1,0,1]
	global_store_b64 v[6:7], v[0:1], off
.LBB24_20:
	s_endpgm
	.section	.rodata,"a",@progbits
	.p2align	6, 0x0
	.amdhsa_kernel _ZN9rocsparseL29gebsrmm_small_blockdim_kernelILi1ELi2ELi2ELi16E21rocsparse_complex_numIfEEEv20rocsparse_direction_20rocsparse_operation_iiNS_24const_host_device_scalarIT3_EEPKiS9_PKS6_iiSB_lS7_PS6_l21rocsparse_index_base_b
		.amdhsa_group_segment_fixed_size 288
		.amdhsa_private_segment_fixed_size 0
		.amdhsa_kernarg_size 104
		.amdhsa_user_sgpr_count 2
		.amdhsa_user_sgpr_dispatch_ptr 0
		.amdhsa_user_sgpr_queue_ptr 0
		.amdhsa_user_sgpr_kernarg_segment_ptr 1
		.amdhsa_user_sgpr_dispatch_id 0
		.amdhsa_user_sgpr_kernarg_preload_length 0
		.amdhsa_user_sgpr_kernarg_preload_offset 0
		.amdhsa_user_sgpr_private_segment_size 0
		.amdhsa_wavefront_size32 1
		.amdhsa_uses_dynamic_stack 0
		.amdhsa_enable_private_segment 0
		.amdhsa_system_sgpr_workgroup_id_x 1
		.amdhsa_system_sgpr_workgroup_id_y 1
		.amdhsa_system_sgpr_workgroup_id_z 0
		.amdhsa_system_sgpr_workgroup_info 0
		.amdhsa_system_vgpr_workitem_id 1
		.amdhsa_next_free_vgpr 28
		.amdhsa_next_free_sgpr 24
		.amdhsa_named_barrier_count 0
		.amdhsa_reserve_vcc 1
		.amdhsa_float_round_mode_32 0
		.amdhsa_float_round_mode_16_64 0
		.amdhsa_float_denorm_mode_32 3
		.amdhsa_float_denorm_mode_16_64 3
		.amdhsa_fp16_overflow 0
		.amdhsa_memory_ordered 1
		.amdhsa_forward_progress 1
		.amdhsa_inst_pref_size 9
		.amdhsa_round_robin_scheduling 0
		.amdhsa_exception_fp_ieee_invalid_op 0
		.amdhsa_exception_fp_denorm_src 0
		.amdhsa_exception_fp_ieee_div_zero 0
		.amdhsa_exception_fp_ieee_overflow 0
		.amdhsa_exception_fp_ieee_underflow 0
		.amdhsa_exception_fp_ieee_inexact 0
		.amdhsa_exception_int_div_zero 0
	.end_amdhsa_kernel
	.section	.text._ZN9rocsparseL29gebsrmm_small_blockdim_kernelILi1ELi2ELi2ELi16E21rocsparse_complex_numIfEEEv20rocsparse_direction_20rocsparse_operation_iiNS_24const_host_device_scalarIT3_EEPKiS9_PKS6_iiSB_lS7_PS6_l21rocsparse_index_base_b,"axG",@progbits,_ZN9rocsparseL29gebsrmm_small_blockdim_kernelILi1ELi2ELi2ELi16E21rocsparse_complex_numIfEEEv20rocsparse_direction_20rocsparse_operation_iiNS_24const_host_device_scalarIT3_EEPKiS9_PKS6_iiSB_lS7_PS6_l21rocsparse_index_base_b,comdat
.Lfunc_end24:
	.size	_ZN9rocsparseL29gebsrmm_small_blockdim_kernelILi1ELi2ELi2ELi16E21rocsparse_complex_numIfEEEv20rocsparse_direction_20rocsparse_operation_iiNS_24const_host_device_scalarIT3_EEPKiS9_PKS6_iiSB_lS7_PS6_l21rocsparse_index_base_b, .Lfunc_end24-_ZN9rocsparseL29gebsrmm_small_blockdim_kernelILi1ELi2ELi2ELi16E21rocsparse_complex_numIfEEEv20rocsparse_direction_20rocsparse_operation_iiNS_24const_host_device_scalarIT3_EEPKiS9_PKS6_iiSB_lS7_PS6_l21rocsparse_index_base_b
                                        ; -- End function
	.set _ZN9rocsparseL29gebsrmm_small_blockdim_kernelILi1ELi2ELi2ELi16E21rocsparse_complex_numIfEEEv20rocsparse_direction_20rocsparse_operation_iiNS_24const_host_device_scalarIT3_EEPKiS9_PKS6_iiSB_lS7_PS6_l21rocsparse_index_base_b.num_vgpr, 28
	.set _ZN9rocsparseL29gebsrmm_small_blockdim_kernelILi1ELi2ELi2ELi16E21rocsparse_complex_numIfEEEv20rocsparse_direction_20rocsparse_operation_iiNS_24const_host_device_scalarIT3_EEPKiS9_PKS6_iiSB_lS7_PS6_l21rocsparse_index_base_b.num_agpr, 0
	.set _ZN9rocsparseL29gebsrmm_small_blockdim_kernelILi1ELi2ELi2ELi16E21rocsparse_complex_numIfEEEv20rocsparse_direction_20rocsparse_operation_iiNS_24const_host_device_scalarIT3_EEPKiS9_PKS6_iiSB_lS7_PS6_l21rocsparse_index_base_b.numbered_sgpr, 24
	.set _ZN9rocsparseL29gebsrmm_small_blockdim_kernelILi1ELi2ELi2ELi16E21rocsparse_complex_numIfEEEv20rocsparse_direction_20rocsparse_operation_iiNS_24const_host_device_scalarIT3_EEPKiS9_PKS6_iiSB_lS7_PS6_l21rocsparse_index_base_b.num_named_barrier, 0
	.set _ZN9rocsparseL29gebsrmm_small_blockdim_kernelILi1ELi2ELi2ELi16E21rocsparse_complex_numIfEEEv20rocsparse_direction_20rocsparse_operation_iiNS_24const_host_device_scalarIT3_EEPKiS9_PKS6_iiSB_lS7_PS6_l21rocsparse_index_base_b.private_seg_size, 0
	.set _ZN9rocsparseL29gebsrmm_small_blockdim_kernelILi1ELi2ELi2ELi16E21rocsparse_complex_numIfEEEv20rocsparse_direction_20rocsparse_operation_iiNS_24const_host_device_scalarIT3_EEPKiS9_PKS6_iiSB_lS7_PS6_l21rocsparse_index_base_b.uses_vcc, 1
	.set _ZN9rocsparseL29gebsrmm_small_blockdim_kernelILi1ELi2ELi2ELi16E21rocsparse_complex_numIfEEEv20rocsparse_direction_20rocsparse_operation_iiNS_24const_host_device_scalarIT3_EEPKiS9_PKS6_iiSB_lS7_PS6_l21rocsparse_index_base_b.uses_flat_scratch, 1
	.set _ZN9rocsparseL29gebsrmm_small_blockdim_kernelILi1ELi2ELi2ELi16E21rocsparse_complex_numIfEEEv20rocsparse_direction_20rocsparse_operation_iiNS_24const_host_device_scalarIT3_EEPKiS9_PKS6_iiSB_lS7_PS6_l21rocsparse_index_base_b.has_dyn_sized_stack, 0
	.set _ZN9rocsparseL29gebsrmm_small_blockdim_kernelILi1ELi2ELi2ELi16E21rocsparse_complex_numIfEEEv20rocsparse_direction_20rocsparse_operation_iiNS_24const_host_device_scalarIT3_EEPKiS9_PKS6_iiSB_lS7_PS6_l21rocsparse_index_base_b.has_recursion, 0
	.set _ZN9rocsparseL29gebsrmm_small_blockdim_kernelILi1ELi2ELi2ELi16E21rocsparse_complex_numIfEEEv20rocsparse_direction_20rocsparse_operation_iiNS_24const_host_device_scalarIT3_EEPKiS9_PKS6_iiSB_lS7_PS6_l21rocsparse_index_base_b.has_indirect_call, 0
	.section	.AMDGPU.csdata,"",@progbits
; Kernel info:
; codeLenInByte = 1112
; TotalNumSgprs: 26
; NumVgprs: 28
; ScratchSize: 0
; MemoryBound: 0
; FloatMode: 240
; IeeeMode: 1
; LDSByteSize: 288 bytes/workgroup (compile time only)
; SGPRBlocks: 0
; VGPRBlocks: 1
; NumSGPRsForWavesPerEU: 26
; NumVGPRsForWavesPerEU: 28
; NamedBarCnt: 0
; Occupancy: 16
; WaveLimiterHint : 1
; COMPUTE_PGM_RSRC2:SCRATCH_EN: 0
; COMPUTE_PGM_RSRC2:USER_SGPR: 2
; COMPUTE_PGM_RSRC2:TRAP_HANDLER: 0
; COMPUTE_PGM_RSRC2:TGID_X_EN: 1
; COMPUTE_PGM_RSRC2:TGID_Y_EN: 1
; COMPUTE_PGM_RSRC2:TGID_Z_EN: 0
; COMPUTE_PGM_RSRC2:TIDIG_COMP_CNT: 1
	.section	.text._ZN9rocsparseL29gebsrmm_small_blockdim_kernelILi1ELi3ELi3ELi16E21rocsparse_complex_numIfEEEv20rocsparse_direction_20rocsparse_operation_iiNS_24const_host_device_scalarIT3_EEPKiS9_PKS6_iiSB_lS7_PS6_l21rocsparse_index_base_b,"axG",@progbits,_ZN9rocsparseL29gebsrmm_small_blockdim_kernelILi1ELi3ELi3ELi16E21rocsparse_complex_numIfEEEv20rocsparse_direction_20rocsparse_operation_iiNS_24const_host_device_scalarIT3_EEPKiS9_PKS6_iiSB_lS7_PS6_l21rocsparse_index_base_b,comdat
	.globl	_ZN9rocsparseL29gebsrmm_small_blockdim_kernelILi1ELi3ELi3ELi16E21rocsparse_complex_numIfEEEv20rocsparse_direction_20rocsparse_operation_iiNS_24const_host_device_scalarIT3_EEPKiS9_PKS6_iiSB_lS7_PS6_l21rocsparse_index_base_b ; -- Begin function _ZN9rocsparseL29gebsrmm_small_blockdim_kernelILi1ELi3ELi3ELi16E21rocsparse_complex_numIfEEEv20rocsparse_direction_20rocsparse_operation_iiNS_24const_host_device_scalarIT3_EEPKiS9_PKS6_iiSB_lS7_PS6_l21rocsparse_index_base_b
	.p2align	8
	.type	_ZN9rocsparseL29gebsrmm_small_blockdim_kernelILi1ELi3ELi3ELi16E21rocsparse_complex_numIfEEEv20rocsparse_direction_20rocsparse_operation_iiNS_24const_host_device_scalarIT3_EEPKiS9_PKS6_iiSB_lS7_PS6_l21rocsparse_index_base_b,@function
_ZN9rocsparseL29gebsrmm_small_blockdim_kernelILi1ELi3ELi3ELi16E21rocsparse_complex_numIfEEEv20rocsparse_direction_20rocsparse_operation_iiNS_24const_host_device_scalarIT3_EEPKiS9_PKS6_iiSB_lS7_PS6_l21rocsparse_index_base_b: ; @_ZN9rocsparseL29gebsrmm_small_blockdim_kernelILi1ELi3ELi3ELi16E21rocsparse_complex_numIfEEEv20rocsparse_direction_20rocsparse_operation_iiNS_24const_host_device_scalarIT3_EEPKiS9_PKS6_iiSB_lS7_PS6_l21rocsparse_index_base_b
; %bb.0:
	s_clause 0x2
	s_load_b64 s[6:7], s[0:1], 0x60
	s_load_b64 s[2:3], s[0:1], 0x10
	s_load_b128 s[8:11], s[0:1], 0x40
	v_mov_b32_e32 v1, 0
	s_add_nc_u64 s[4:5], s[0:1], 16
	s_add_nc_u64 s[12:13], s[0:1], 0x48
	s_mov_b32 s20, 0
	s_wait_kmcnt 0x0
	s_bitcmp1_b32 s7, 0
	s_cselect_b32 s3, s5, s3
	s_cselect_b32 s2, s4, s2
	;; [unrolled: 1-line block ×4, first 2 shown]
	s_clause 0x1
	flat_load_b64 v[2:3], v1, s[2:3]
	flat_load_b64 v[4:5], v1, s[4:5]
	s_wait_loadcnt_dscnt 0x101
	v_cmp_eq_f32_e32 vcc_lo, 0, v2
	v_cmp_eq_f32_e64 s3, 0, v3
	s_wait_loadcnt_dscnt 0x0
	v_cmp_eq_f32_e64 s4, 1.0, v4
	v_cmp_eq_f32_e64 s2, 0, v5
	s_and_b32 s3, vcc_lo, s3
	s_and_b32 s4, s4, s2
	s_delay_alu instid0(SALU_CYCLE_1) | instskip(NEXT) | instid1(SALU_CYCLE_1)
	s_and_b32 s3, s3, s4
	s_xor_b32 s3, s3, -1
	s_delay_alu instid0(SALU_CYCLE_1)
	s_and_saveexec_b32 s4, s3
	s_cbranch_execz .LBB25_20
; %bb.1:
	s_load_b96 s[16:18], s[0:1], 0x4
	s_bfe_u32 s3, ttmp6, 0x4000c
	s_and_b32 s4, ttmp6, 15
	s_add_co_i32 s3, s3, 1
	s_mov_b32 s7, 0
	s_mul_i32 s5, ttmp9, s3
	s_getreg_b32 s3, hwreg(HW_REG_IB_STS2, 6, 4)
	s_add_co_i32 s4, s4, s5
	s_cmp_eq_u32 s3, 0
	s_cselect_b32 s10, ttmp9, s4
	s_wait_kmcnt 0x0
	s_cmp_lt_i32 s10, s17
	s_cselect_b32 s19, -1, 0
	s_cmp_ge_i32 s10, s17
	s_cbranch_scc1 .LBB25_3
; %bb.2:
	s_load_b64 s[4:5], s[0:1], 0x18
	s_ashr_i32 s11, s10, 31
	s_delay_alu instid0(SALU_CYCLE_1)
	s_lshl_b64 s[12:13], s[10:11], 2
	s_wait_kmcnt 0x0
	s_add_nc_u64 s[4:5], s[4:5], s[12:13]
	s_load_b64 s[12:13], s[4:5], 0x0
	s_wait_kmcnt 0x0
	s_sub_co_i32 s20, s12, s6
	s_sub_co_i32 s7, s13, s6
.LBB25_3:
	s_bfe_u32 s4, ttmp6, 0x40010
	s_bfe_u32 s5, ttmp6, 0x40004
	s_add_co_i32 s4, s4, 1
	v_bfe_u32 v8, v0, 10, 10
	s_mul_i32 s4, ttmp7, s4
	v_and_b32_e32 v14, 0x3ff, v0
	s_add_co_i32 s5, s5, s4
	s_cmp_eq_u32 s3, 0
	s_cselect_b32 s3, ttmp7, s5
	s_cmp_ge_i32 s20, s7
	v_lshl_add_u32 v6, s3, 4, v8
	v_mov_b32_e32 v1, 0
	v_cmp_eq_u32_e64 s3, 0, v14
	s_delay_alu instid0(VALU_DEP_3) | instskip(SKIP_1) | instid1(VALU_DEP_4)
	v_ashrrev_i32_e32 v7, 31, v6
	v_cmp_gt_i32_e64 s4, s18, v6
	v_mov_b32_e32 v0, v1
	s_cbranch_scc1 .LBB25_15
; %bb.4:
	v_mul_u64_e32 v[10:11], s[8:9], v[6:7]
	s_clause 0x1
	s_load_b64 s[22:23], s[0:1], 0x38
	s_load_b128 s[12:15], s[0:1], 0x20
	v_mul_u32_u24_e32 v9, 3, v8
	v_cmp_lt_u32_e32 vcc_lo, 2, v14
	v_cmp_gt_u32_e64 s5, 3, v8
	v_dual_mov_b32 v1, 0 :: v_dual_lshlrev_b32 v0, 3, v14
	s_xor_b32 s11, s4, -1
	v_mad_u32 v15, s20, 3, v8
	v_add_lshl_u32 v16, v9, v14, 3
	s_or_b32 s11, s11, vcc_lo
	s_and_b32 s5, s3, s5
	s_cmp_lg_u32 s16, 0x6f
	v_mov_b64_e32 v[12:13], 0
	s_cselect_b32 s18, -1, 0
	s_ashr_i32 s21, s20, 31
	v_add_nc_u32_e32 v17, 0x180, v0
	v_lshlrev_b32_e32 v18, 3, v9
	v_add_nc_u32_e32 v19, 0x180, v16
	s_lshl_b64 s[16:17], s[20:21], 2
	s_wait_kmcnt 0x0
	v_lshl_add_u64 v[8:9], v[6:7], 3, s[22:23]
	s_add_nc_u64 s[12:13], s[12:13], s[16:17]
	v_lshl_add_u64 v[10:11], v[10:11], 3, s[22:23]
	s_delay_alu instid0(VALU_DEP_1)
	v_add_nc_u64_e32 v[10:11], v[10:11], v[0:1]
	v_mov_b32_e32 v0, v1
	s_branch .LBB25_6
.LBB25_5:                               ;   in Loop: Header=BB25_6 Depth=1
	s_or_b32 exec_lo, exec_lo, s16
	s_wait_dscnt 0x0
	s_barrier_signal -1
	s_barrier_wait -1
	ds_load_2addr_b64 v[20:23], v18 offset1:1
	ds_load_2addr_b64 v[24:27], v17 offset1:3
	ds_load_b64 v[28:29], v18 offset:16
	ds_load_b64 v[30:31], v17 offset:48
	s_add_co_i32 s20, s20, 1
	s_add_nc_u64 s[12:13], s[12:13], 4
	s_cmp_ge_i32 s20, s7
	s_wait_dscnt 0x0
	s_barrier_signal -1
	s_barrier_wait -1
	v_add_nc_u32_e32 v15, 3, v15
	v_pk_fma_f32 v[0:1], v[24:25], v[20:21], v[0:1] op_sel_hi:[1,0,1]
	s_delay_alu instid0(VALU_DEP_1) | instskip(SKIP_1) | instid1(VALU_DEP_2)
	v_pk_fma_f32 v[0:1], v[24:25], v[20:21], v[0:1] op_sel:[1,1,0] op_sel_hi:[0,1,1] neg_lo:[1,0,0]
	v_mov_b32_e32 v20, v23
	v_pk_fma_f32 v[0:1], v[26:27], v[22:23], v[0:1] op_sel_hi:[1,0,1]
	s_delay_alu instid0(VALU_DEP_1) | instskip(NEXT) | instid1(VALU_DEP_1)
	v_pk_fma_f32 v[0:1], v[26:27], v[20:21], v[0:1] op_sel:[1,0,0] op_sel_hi:[0,0,1] neg_lo:[1,0,0]
	v_pk_fma_f32 v[0:1], v[30:31], v[28:29], v[0:1] op_sel_hi:[1,0,1]
	s_delay_alu instid0(VALU_DEP_1)
	v_pk_fma_f32 v[0:1], v[30:31], v[28:29], v[0:1] op_sel:[1,1,0] op_sel_hi:[0,1,1] neg_lo:[1,0,0]
	s_cbranch_scc1 .LBB25_15
.LBB25_6:                               ; =>This Inner Loop Header: Depth=1
	s_and_saveexec_b32 s16, s11
	s_delay_alu instid0(SALU_CYCLE_1)
	s_xor_b32 s16, exec_lo, s16
; %bb.7:                                ;   in Loop: Header=BB25_6 Depth=1
	ds_store_b64 v16, v[12:13]
; %bb.8:                                ;   in Loop: Header=BB25_6 Depth=1
	s_and_not1_saveexec_b32 s21, s16
	s_cbranch_execz .LBB25_13
; %bb.9:                                ;   in Loop: Header=BB25_6 Depth=1
	s_load_b32 s16, s[12:13], 0x0
	s_mov_b32 s17, -1
	s_and_b32 vcc_lo, exec_lo, s18
	s_wait_kmcnt 0x0
	s_sub_co_i32 s16, s16, s6
	s_delay_alu instid0(SALU_CYCLE_1)
	s_mul_i32 s16, s16, 3
	s_cbranch_vccz .LBB25_11
; %bb.10:                               ;   in Loop: Header=BB25_6 Depth=1
	v_add_nc_u32_e32 v20, s16, v14
	s_mov_b32 s17, 0
	s_delay_alu instid0(VALU_DEP_1) | instskip(NEXT) | instid1(VALU_DEP_1)
	v_ashrrev_i32_e32 v21, 31, v20
	v_mul_u64_e32 v[20:21], s[8:9], v[20:21]
	s_delay_alu instid0(VALU_DEP_1)
	v_lshl_add_u64 v[20:21], v[20:21], 3, v[8:9]
	global_load_b64 v[20:21], v[20:21], off
	s_wait_loadcnt 0x0
	ds_store_b64 v16, v[20:21]
.LBB25_11:                              ;   in Loop: Header=BB25_6 Depth=1
	s_and_not1_b32 vcc_lo, exec_lo, s17
	s_cbranch_vccnz .LBB25_13
; %bb.12:                               ;   in Loop: Header=BB25_6 Depth=1
	s_ashr_i32 s17, s16, 31
	s_delay_alu instid0(SALU_CYCLE_1)
	v_lshl_add_u64 v[20:21], s[16:17], 3, v[10:11]
	global_load_b64 v[20:21], v[20:21], off
	s_wait_loadcnt 0x0
	ds_store_b64 v16, v[20:21]
.LBB25_13:                              ;   in Loop: Header=BB25_6 Depth=1
	s_or_b32 exec_lo, exec_lo, s21
	s_and_saveexec_b32 s16, s5
	s_cbranch_execz .LBB25_5
; %bb.14:                               ;   in Loop: Header=BB25_6 Depth=1
	global_load_b64 v[20:21], v15, s[14:15] scale_offset
	s_wait_loadcnt 0x0
	ds_store_b64 v19, v[20:21]
	s_branch .LBB25_5
.LBB25_15:
	s_load_b64 s[6:7], s[0:1], 0x50
	s_and_b32 s3, s3, s4
	s_delay_alu instid0(SALU_CYCLE_1) | instskip(NEXT) | instid1(SALU_CYCLE_1)
	s_and_b32 s3, s19, s3
	s_and_b32 exec_lo, exec_lo, s3
	s_cbranch_execz .LBB25_20
; %bb.16:
	s_wait_xcnt 0x0
	s_load_b64 s[0:1], s[0:1], 0x58
	v_cmp_neq_f32_e32 vcc_lo, 0, v4
	s_wait_kmcnt 0x0
	v_mul_u64_e32 v[8:9], s[0:1], v[6:7]
	v_add_nc_u32_e32 v6, s10, v14
	s_xor_b32 s0, s2, -1
	s_delay_alu instid0(SALU_CYCLE_1) | instskip(NEXT) | instid1(VALU_DEP_1)
	s_or_b32 s0, vcc_lo, s0
	v_ashrrev_i32_e32 v7, 31, v6
	s_delay_alu instid0(VALU_DEP_3) | instskip(SKIP_2) | instid1(SALU_CYCLE_1)
	v_lshl_add_u64 v[10:11], v[8:9], 3, s[6:7]
	v_xor_b32_e32 v8, 0x80000000, v3
	s_and_saveexec_b32 s1, s0
	s_xor_b32 s0, exec_lo, s1
	s_cbranch_execz .LBB25_18
; %bb.17:
	v_lshl_add_u64 v[6:7], v[6:7], 3, v[10:11]
	v_mov_b32_e32 v9, v2
	global_load_b64 v[10:11], v[6:7], off
	v_pk_mul_f32 v[8:9], v[0:1], v[8:9] op_sel:[1,0]
	s_delay_alu instid0(VALU_DEP_1) | instskip(SKIP_3) | instid1(VALU_DEP_3)
	v_pk_fma_f32 v[0:1], v[2:3], v[0:1], v[8:9] op_sel_hi:[1,0,1]
	v_xor_b32_e32 v2, 0x80000000, v5
	v_mov_b32_e32 v3, v4
                                        ; implicit-def: $vgpr8
	s_wait_loadcnt 0x0
	v_pk_fma_f32 v[0:1], v[4:5], v[10:11], v[0:1] op_sel_hi:[1,0,1]
	s_delay_alu instid0(VALU_DEP_1)
	v_pk_fma_f32 v[0:1], v[2:3], v[10:11], v[0:1] op_sel:[0,1,0]
                                        ; implicit-def: $vgpr10_vgpr11
                                        ; implicit-def: $vgpr2_vgpr3
	global_store_b64 v[6:7], v[0:1], off
                                        ; implicit-def: $vgpr6
                                        ; implicit-def: $vgpr0_vgpr1
.LBB25_18:
	s_wait_xcnt 0x0
	s_and_not1_saveexec_b32 s0, s0
	s_cbranch_execz .LBB25_20
; %bb.19:
	v_mov_b32_e32 v9, v2
	v_lshl_add_u64 v[6:7], v[6:7], 3, v[10:11]
	s_delay_alu instid0(VALU_DEP_2) | instskip(NEXT) | instid1(VALU_DEP_1)
	v_pk_mul_f32 v[4:5], v[0:1], v[8:9] op_sel:[1,0]
	v_pk_fma_f32 v[0:1], v[2:3], v[0:1], v[4:5] op_sel_hi:[1,0,1]
	global_store_b64 v[6:7], v[0:1], off
.LBB25_20:
	s_endpgm
	.section	.rodata,"a",@progbits
	.p2align	6, 0x0
	.amdhsa_kernel _ZN9rocsparseL29gebsrmm_small_blockdim_kernelILi1ELi3ELi3ELi16E21rocsparse_complex_numIfEEEv20rocsparse_direction_20rocsparse_operation_iiNS_24const_host_device_scalarIT3_EEPKiS9_PKS6_iiSB_lS7_PS6_l21rocsparse_index_base_b
		.amdhsa_group_segment_fixed_size 456
		.amdhsa_private_segment_fixed_size 0
		.amdhsa_kernarg_size 104
		.amdhsa_user_sgpr_count 2
		.amdhsa_user_sgpr_dispatch_ptr 0
		.amdhsa_user_sgpr_queue_ptr 0
		.amdhsa_user_sgpr_kernarg_segment_ptr 1
		.amdhsa_user_sgpr_dispatch_id 0
		.amdhsa_user_sgpr_kernarg_preload_length 0
		.amdhsa_user_sgpr_kernarg_preload_offset 0
		.amdhsa_user_sgpr_private_segment_size 0
		.amdhsa_wavefront_size32 1
		.amdhsa_uses_dynamic_stack 0
		.amdhsa_enable_private_segment 0
		.amdhsa_system_sgpr_workgroup_id_x 1
		.amdhsa_system_sgpr_workgroup_id_y 1
		.amdhsa_system_sgpr_workgroup_id_z 0
		.amdhsa_system_sgpr_workgroup_info 0
		.amdhsa_system_vgpr_workitem_id 1
		.amdhsa_next_free_vgpr 32
		.amdhsa_next_free_sgpr 24
		.amdhsa_named_barrier_count 0
		.amdhsa_reserve_vcc 1
		.amdhsa_float_round_mode_32 0
		.amdhsa_float_round_mode_16_64 0
		.amdhsa_float_denorm_mode_32 3
		.amdhsa_float_denorm_mode_16_64 3
		.amdhsa_fp16_overflow 0
		.amdhsa_memory_ordered 1
		.amdhsa_forward_progress 1
		.amdhsa_inst_pref_size 9
		.amdhsa_round_robin_scheduling 0
		.amdhsa_exception_fp_ieee_invalid_op 0
		.amdhsa_exception_fp_denorm_src 0
		.amdhsa_exception_fp_ieee_div_zero 0
		.amdhsa_exception_fp_ieee_overflow 0
		.amdhsa_exception_fp_ieee_underflow 0
		.amdhsa_exception_fp_ieee_inexact 0
		.amdhsa_exception_int_div_zero 0
	.end_amdhsa_kernel
	.section	.text._ZN9rocsparseL29gebsrmm_small_blockdim_kernelILi1ELi3ELi3ELi16E21rocsparse_complex_numIfEEEv20rocsparse_direction_20rocsparse_operation_iiNS_24const_host_device_scalarIT3_EEPKiS9_PKS6_iiSB_lS7_PS6_l21rocsparse_index_base_b,"axG",@progbits,_ZN9rocsparseL29gebsrmm_small_blockdim_kernelILi1ELi3ELi3ELi16E21rocsparse_complex_numIfEEEv20rocsparse_direction_20rocsparse_operation_iiNS_24const_host_device_scalarIT3_EEPKiS9_PKS6_iiSB_lS7_PS6_l21rocsparse_index_base_b,comdat
.Lfunc_end25:
	.size	_ZN9rocsparseL29gebsrmm_small_blockdim_kernelILi1ELi3ELi3ELi16E21rocsparse_complex_numIfEEEv20rocsparse_direction_20rocsparse_operation_iiNS_24const_host_device_scalarIT3_EEPKiS9_PKS6_iiSB_lS7_PS6_l21rocsparse_index_base_b, .Lfunc_end25-_ZN9rocsparseL29gebsrmm_small_blockdim_kernelILi1ELi3ELi3ELi16E21rocsparse_complex_numIfEEEv20rocsparse_direction_20rocsparse_operation_iiNS_24const_host_device_scalarIT3_EEPKiS9_PKS6_iiSB_lS7_PS6_l21rocsparse_index_base_b
                                        ; -- End function
	.set _ZN9rocsparseL29gebsrmm_small_blockdim_kernelILi1ELi3ELi3ELi16E21rocsparse_complex_numIfEEEv20rocsparse_direction_20rocsparse_operation_iiNS_24const_host_device_scalarIT3_EEPKiS9_PKS6_iiSB_lS7_PS6_l21rocsparse_index_base_b.num_vgpr, 32
	.set _ZN9rocsparseL29gebsrmm_small_blockdim_kernelILi1ELi3ELi3ELi16E21rocsparse_complex_numIfEEEv20rocsparse_direction_20rocsparse_operation_iiNS_24const_host_device_scalarIT3_EEPKiS9_PKS6_iiSB_lS7_PS6_l21rocsparse_index_base_b.num_agpr, 0
	.set _ZN9rocsparseL29gebsrmm_small_blockdim_kernelILi1ELi3ELi3ELi16E21rocsparse_complex_numIfEEEv20rocsparse_direction_20rocsparse_operation_iiNS_24const_host_device_scalarIT3_EEPKiS9_PKS6_iiSB_lS7_PS6_l21rocsparse_index_base_b.numbered_sgpr, 24
	.set _ZN9rocsparseL29gebsrmm_small_blockdim_kernelILi1ELi3ELi3ELi16E21rocsparse_complex_numIfEEEv20rocsparse_direction_20rocsparse_operation_iiNS_24const_host_device_scalarIT3_EEPKiS9_PKS6_iiSB_lS7_PS6_l21rocsparse_index_base_b.num_named_barrier, 0
	.set _ZN9rocsparseL29gebsrmm_small_blockdim_kernelILi1ELi3ELi3ELi16E21rocsparse_complex_numIfEEEv20rocsparse_direction_20rocsparse_operation_iiNS_24const_host_device_scalarIT3_EEPKiS9_PKS6_iiSB_lS7_PS6_l21rocsparse_index_base_b.private_seg_size, 0
	.set _ZN9rocsparseL29gebsrmm_small_blockdim_kernelILi1ELi3ELi3ELi16E21rocsparse_complex_numIfEEEv20rocsparse_direction_20rocsparse_operation_iiNS_24const_host_device_scalarIT3_EEPKiS9_PKS6_iiSB_lS7_PS6_l21rocsparse_index_base_b.uses_vcc, 1
	.set _ZN9rocsparseL29gebsrmm_small_blockdim_kernelILi1ELi3ELi3ELi16E21rocsparse_complex_numIfEEEv20rocsparse_direction_20rocsparse_operation_iiNS_24const_host_device_scalarIT3_EEPKiS9_PKS6_iiSB_lS7_PS6_l21rocsparse_index_base_b.uses_flat_scratch, 1
	.set _ZN9rocsparseL29gebsrmm_small_blockdim_kernelILi1ELi3ELi3ELi16E21rocsparse_complex_numIfEEEv20rocsparse_direction_20rocsparse_operation_iiNS_24const_host_device_scalarIT3_EEPKiS9_PKS6_iiSB_lS7_PS6_l21rocsparse_index_base_b.has_dyn_sized_stack, 0
	.set _ZN9rocsparseL29gebsrmm_small_blockdim_kernelILi1ELi3ELi3ELi16E21rocsparse_complex_numIfEEEv20rocsparse_direction_20rocsparse_operation_iiNS_24const_host_device_scalarIT3_EEPKiS9_PKS6_iiSB_lS7_PS6_l21rocsparse_index_base_b.has_recursion, 0
	.set _ZN9rocsparseL29gebsrmm_small_blockdim_kernelILi1ELi3ELi3ELi16E21rocsparse_complex_numIfEEEv20rocsparse_direction_20rocsparse_operation_iiNS_24const_host_device_scalarIT3_EEPKiS9_PKS6_iiSB_lS7_PS6_l21rocsparse_index_base_b.has_indirect_call, 0
	.section	.AMDGPU.csdata,"",@progbits
; Kernel info:
; codeLenInByte = 1152
; TotalNumSgprs: 26
; NumVgprs: 32
; ScratchSize: 0
; MemoryBound: 0
; FloatMode: 240
; IeeeMode: 1
; LDSByteSize: 456 bytes/workgroup (compile time only)
; SGPRBlocks: 0
; VGPRBlocks: 1
; NumSGPRsForWavesPerEU: 26
; NumVGPRsForWavesPerEU: 32
; NamedBarCnt: 0
; Occupancy: 16
; WaveLimiterHint : 1
; COMPUTE_PGM_RSRC2:SCRATCH_EN: 0
; COMPUTE_PGM_RSRC2:USER_SGPR: 2
; COMPUTE_PGM_RSRC2:TRAP_HANDLER: 0
; COMPUTE_PGM_RSRC2:TGID_X_EN: 1
; COMPUTE_PGM_RSRC2:TGID_Y_EN: 1
; COMPUTE_PGM_RSRC2:TGID_Z_EN: 0
; COMPUTE_PGM_RSRC2:TIDIG_COMP_CNT: 1
	.section	.text._ZN9rocsparseL29gebsrmm_small_blockdim_kernelILi1ELi4ELi4ELi16E21rocsparse_complex_numIfEEEv20rocsparse_direction_20rocsparse_operation_iiNS_24const_host_device_scalarIT3_EEPKiS9_PKS6_iiSB_lS7_PS6_l21rocsparse_index_base_b,"axG",@progbits,_ZN9rocsparseL29gebsrmm_small_blockdim_kernelILi1ELi4ELi4ELi16E21rocsparse_complex_numIfEEEv20rocsparse_direction_20rocsparse_operation_iiNS_24const_host_device_scalarIT3_EEPKiS9_PKS6_iiSB_lS7_PS6_l21rocsparse_index_base_b,comdat
	.globl	_ZN9rocsparseL29gebsrmm_small_blockdim_kernelILi1ELi4ELi4ELi16E21rocsparse_complex_numIfEEEv20rocsparse_direction_20rocsparse_operation_iiNS_24const_host_device_scalarIT3_EEPKiS9_PKS6_iiSB_lS7_PS6_l21rocsparse_index_base_b ; -- Begin function _ZN9rocsparseL29gebsrmm_small_blockdim_kernelILi1ELi4ELi4ELi16E21rocsparse_complex_numIfEEEv20rocsparse_direction_20rocsparse_operation_iiNS_24const_host_device_scalarIT3_EEPKiS9_PKS6_iiSB_lS7_PS6_l21rocsparse_index_base_b
	.p2align	8
	.type	_ZN9rocsparseL29gebsrmm_small_blockdim_kernelILi1ELi4ELi4ELi16E21rocsparse_complex_numIfEEEv20rocsparse_direction_20rocsparse_operation_iiNS_24const_host_device_scalarIT3_EEPKiS9_PKS6_iiSB_lS7_PS6_l21rocsparse_index_base_b,@function
_ZN9rocsparseL29gebsrmm_small_blockdim_kernelILi1ELi4ELi4ELi16E21rocsparse_complex_numIfEEEv20rocsparse_direction_20rocsparse_operation_iiNS_24const_host_device_scalarIT3_EEPKiS9_PKS6_iiSB_lS7_PS6_l21rocsparse_index_base_b: ; @_ZN9rocsparseL29gebsrmm_small_blockdim_kernelILi1ELi4ELi4ELi16E21rocsparse_complex_numIfEEEv20rocsparse_direction_20rocsparse_operation_iiNS_24const_host_device_scalarIT3_EEPKiS9_PKS6_iiSB_lS7_PS6_l21rocsparse_index_base_b
; %bb.0:
	s_clause 0x2
	s_load_b64 s[6:7], s[0:1], 0x60
	s_load_b64 s[2:3], s[0:1], 0x10
	s_load_b128 s[8:11], s[0:1], 0x40
	v_mov_b32_e32 v1, 0
	s_add_nc_u64 s[4:5], s[0:1], 16
	s_add_nc_u64 s[12:13], s[0:1], 0x48
	s_mov_b32 s20, 0
	s_wait_kmcnt 0x0
	s_bitcmp1_b32 s7, 0
	s_cselect_b32 s3, s5, s3
	s_cselect_b32 s2, s4, s2
	;; [unrolled: 1-line block ×4, first 2 shown]
	s_clause 0x1
	flat_load_b64 v[2:3], v1, s[2:3]
	flat_load_b64 v[4:5], v1, s[4:5]
	s_wait_loadcnt_dscnt 0x101
	v_cmp_eq_f32_e32 vcc_lo, 0, v2
	v_cmp_eq_f32_e64 s3, 0, v3
	s_wait_loadcnt_dscnt 0x0
	v_cmp_eq_f32_e64 s4, 1.0, v4
	v_cmp_eq_f32_e64 s2, 0, v5
	s_and_b32 s3, vcc_lo, s3
	s_and_b32 s4, s4, s2
	s_delay_alu instid0(SALU_CYCLE_1) | instskip(NEXT) | instid1(SALU_CYCLE_1)
	s_and_b32 s3, s3, s4
	s_xor_b32 s3, s3, -1
	s_delay_alu instid0(SALU_CYCLE_1)
	s_and_saveexec_b32 s4, s3
	s_cbranch_execz .LBB26_20
; %bb.1:
	s_load_b96 s[16:18], s[0:1], 0x4
	s_bfe_u32 s3, ttmp6, 0x4000c
	s_and_b32 s4, ttmp6, 15
	s_add_co_i32 s3, s3, 1
	s_mov_b32 s7, 0
	s_mul_i32 s5, ttmp9, s3
	s_getreg_b32 s3, hwreg(HW_REG_IB_STS2, 6, 4)
	s_add_co_i32 s4, s4, s5
	s_cmp_eq_u32 s3, 0
	s_cselect_b32 s10, ttmp9, s4
	s_wait_kmcnt 0x0
	s_cmp_lt_i32 s10, s17
	s_cselect_b32 s19, -1, 0
	s_cmp_ge_i32 s10, s17
	s_cbranch_scc1 .LBB26_3
; %bb.2:
	s_load_b64 s[4:5], s[0:1], 0x18
	s_ashr_i32 s11, s10, 31
	s_delay_alu instid0(SALU_CYCLE_1)
	s_lshl_b64 s[12:13], s[10:11], 2
	s_wait_kmcnt 0x0
	s_add_nc_u64 s[4:5], s[4:5], s[12:13]
	s_load_b64 s[12:13], s[4:5], 0x0
	s_wait_kmcnt 0x0
	s_sub_co_i32 s20, s12, s6
	s_sub_co_i32 s7, s13, s6
.LBB26_3:
	s_bfe_u32 s4, ttmp6, 0x40010
	s_bfe_u32 s5, ttmp6, 0x40004
	s_add_co_i32 s4, s4, 1
	v_bfe_u32 v19, v0, 10, 10
	s_mul_i32 s4, ttmp7, s4
	v_and_b32_e32 v14, 0x3ff, v0
	s_add_co_i32 s5, s5, s4
	s_cmp_eq_u32 s3, 0
	s_cselect_b32 s3, ttmp7, s5
	s_cmp_ge_i32 s20, s7
	v_lshl_add_u32 v6, s3, 4, v19
	v_mov_b32_e32 v1, 0
	v_cmp_eq_u32_e64 s3, 0, v14
	s_delay_alu instid0(VALU_DEP_3) | instskip(SKIP_1) | instid1(VALU_DEP_4)
	v_ashrrev_i32_e32 v7, 31, v6
	v_cmp_gt_i32_e64 s4, s18, v6
	v_mov_b32_e32 v0, v1
	s_cbranch_scc1 .LBB26_15
; %bb.4:
	v_mul_u64_e32 v[8:9], s[8:9], v[6:7]
	s_clause 0x1
	s_load_b64 s[22:23], s[0:1], 0x38
	s_load_b128 s[12:15], s[0:1], 0x20
	v_dual_lshlrev_b32 v10, 2, v19 :: v_dual_lshlrev_b32 v0, 3, v14
	v_cmp_lt_u32_e32 vcc_lo, 3, v14
	v_cmp_gt_u32_e64 s5, 4, v19
	v_dual_mov_b32 v1, 0 :: v_dual_lshlrev_b32 v15, 5, v19
	s_delay_alu instid0(VALU_DEP_4)
	v_add_lshl_u32 v16, v10, v14, 3
	s_xor_b32 s11, s4, -1
	s_and_b32 s5, s3, s5
	s_or_b32 s11, s11, vcc_lo
	s_cmp_lg_u32 s16, 0x6f
	v_mov_b64_e32 v[12:13], 0
	s_cselect_b32 s18, -1, 0
	s_ashr_i32 s21, s20, 31
	v_add_nc_u32_e32 v17, 0x200, v0
	v_add_nc_u32_e32 v18, 0x200, v16
	v_lshl_add_u32 v19, s20, 2, v19
	s_lshl_b64 s[16:17], s[20:21], 2
	s_wait_kmcnt 0x0
	s_add_nc_u64 s[12:13], s[12:13], s[16:17]
	v_lshl_add_u64 v[10:11], v[8:9], 3, s[22:23]
	v_lshl_add_u64 v[8:9], v[6:7], 3, s[22:23]
	s_delay_alu instid0(VALU_DEP_2)
	v_add_nc_u64_e32 v[10:11], v[10:11], v[0:1]
	v_mov_b32_e32 v0, v1
	s_branch .LBB26_6
.LBB26_5:                               ;   in Loop: Header=BB26_6 Depth=1
	s_or_b32 exec_lo, exec_lo, s16
	s_wait_dscnt 0x0
	s_barrier_signal -1
	s_barrier_wait -1
	ds_load_2addr_b64 v[20:23], v17 offset1:4
	ds_load_b128 v[24:27], v15
	ds_load_b128 v[28:31], v15 offset:16
	ds_load_2addr_b64 v[32:35], v17 offset0:8 offset1:12
	s_add_co_i32 s20, s20, 1
	s_add_nc_u64 s[12:13], s[12:13], 4
	s_cmp_ge_i32 s20, s7
	s_wait_dscnt 0x0
	s_barrier_signal -1
	s_barrier_wait -1
	v_add_nc_u32_e32 v19, 4, v19
	v_pk_fma_f32 v[0:1], v[20:21], v[24:25], v[0:1] op_sel_hi:[1,0,1]
	s_delay_alu instid0(VALU_DEP_1) | instskip(SKIP_1) | instid1(VALU_DEP_2)
	v_pk_fma_f32 v[0:1], v[20:21], v[24:25], v[0:1] op_sel:[1,1,0] op_sel_hi:[0,1,1] neg_lo:[1,0,0]
	v_mov_b32_e32 v20, v27
	v_pk_fma_f32 v[0:1], v[22:23], v[26:27], v[0:1] op_sel_hi:[1,0,1]
	s_delay_alu instid0(VALU_DEP_1) | instskip(SKIP_1) | instid1(VALU_DEP_2)
	v_pk_fma_f32 v[0:1], v[22:23], v[20:21], v[0:1] op_sel:[1,0,0] op_sel_hi:[0,0,1] neg_lo:[1,0,0]
	v_mov_b32_e32 v20, v31
	v_pk_fma_f32 v[0:1], v[32:33], v[28:29], v[0:1] op_sel_hi:[1,0,1]
	s_delay_alu instid0(VALU_DEP_1) | instskip(NEXT) | instid1(VALU_DEP_1)
	v_pk_fma_f32 v[0:1], v[32:33], v[28:29], v[0:1] op_sel:[1,1,0] op_sel_hi:[0,1,1] neg_lo:[1,0,0]
	v_pk_fma_f32 v[0:1], v[34:35], v[30:31], v[0:1] op_sel_hi:[1,0,1]
	s_delay_alu instid0(VALU_DEP_1)
	v_pk_fma_f32 v[0:1], v[34:35], v[20:21], v[0:1] op_sel:[1,0,0] op_sel_hi:[0,0,1] neg_lo:[1,0,0]
	s_cbranch_scc1 .LBB26_15
.LBB26_6:                               ; =>This Inner Loop Header: Depth=1
	s_and_saveexec_b32 s16, s11
	s_delay_alu instid0(SALU_CYCLE_1)
	s_xor_b32 s16, exec_lo, s16
; %bb.7:                                ;   in Loop: Header=BB26_6 Depth=1
	ds_store_b64 v16, v[12:13]
; %bb.8:                                ;   in Loop: Header=BB26_6 Depth=1
	s_and_not1_saveexec_b32 s21, s16
	s_cbranch_execz .LBB26_13
; %bb.9:                                ;   in Loop: Header=BB26_6 Depth=1
	s_load_b32 s16, s[12:13], 0x0
	s_mov_b32 s17, -1
	s_and_b32 vcc_lo, exec_lo, s18
	s_wait_kmcnt 0x0
	s_sub_co_i32 s16, s16, s6
	s_delay_alu instid0(SALU_CYCLE_1)
	s_lshl_b32 s16, s16, 2
	s_cbranch_vccz .LBB26_11
; %bb.10:                               ;   in Loop: Header=BB26_6 Depth=1
	v_or_b32_e32 v20, s16, v14
	s_mov_b32 s17, 0
	s_delay_alu instid0(VALU_DEP_1) | instskip(NEXT) | instid1(VALU_DEP_1)
	v_ashrrev_i32_e32 v21, 31, v20
	v_mul_u64_e32 v[20:21], s[8:9], v[20:21]
	s_delay_alu instid0(VALU_DEP_1)
	v_lshl_add_u64 v[20:21], v[20:21], 3, v[8:9]
	global_load_b64 v[20:21], v[20:21], off
	s_wait_loadcnt 0x0
	ds_store_b64 v16, v[20:21]
.LBB26_11:                              ;   in Loop: Header=BB26_6 Depth=1
	s_and_not1_b32 vcc_lo, exec_lo, s17
	s_cbranch_vccnz .LBB26_13
; %bb.12:                               ;   in Loop: Header=BB26_6 Depth=1
	s_ashr_i32 s17, s16, 31
	s_delay_alu instid0(SALU_CYCLE_1)
	v_lshl_add_u64 v[20:21], s[16:17], 3, v[10:11]
	global_load_b64 v[20:21], v[20:21], off
	s_wait_loadcnt 0x0
	ds_store_b64 v16, v[20:21]
.LBB26_13:                              ;   in Loop: Header=BB26_6 Depth=1
	s_or_b32 exec_lo, exec_lo, s21
	s_and_saveexec_b32 s16, s5
	s_cbranch_execz .LBB26_5
; %bb.14:                               ;   in Loop: Header=BB26_6 Depth=1
	global_load_b64 v[20:21], v19, s[14:15] scale_offset
	s_wait_loadcnt 0x0
	ds_store_b64 v18, v[20:21]
	s_branch .LBB26_5
.LBB26_15:
	s_load_b64 s[6:7], s[0:1], 0x50
	s_and_b32 s3, s3, s4
	s_delay_alu instid0(SALU_CYCLE_1) | instskip(NEXT) | instid1(SALU_CYCLE_1)
	s_and_b32 s3, s19, s3
	s_and_b32 exec_lo, exec_lo, s3
	s_cbranch_execz .LBB26_20
; %bb.16:
	s_wait_xcnt 0x0
	s_load_b64 s[0:1], s[0:1], 0x58
	v_cmp_neq_f32_e32 vcc_lo, 0, v4
	s_wait_kmcnt 0x0
	v_mul_u64_e32 v[8:9], s[0:1], v[6:7]
	v_add_nc_u32_e32 v6, s10, v14
	s_xor_b32 s0, s2, -1
	s_delay_alu instid0(SALU_CYCLE_1) | instskip(NEXT) | instid1(VALU_DEP_1)
	s_or_b32 s0, vcc_lo, s0
	v_ashrrev_i32_e32 v7, 31, v6
	s_delay_alu instid0(VALU_DEP_3) | instskip(SKIP_2) | instid1(SALU_CYCLE_1)
	v_lshl_add_u64 v[10:11], v[8:9], 3, s[6:7]
	v_xor_b32_e32 v8, 0x80000000, v3
	s_and_saveexec_b32 s1, s0
	s_xor_b32 s0, exec_lo, s1
	s_cbranch_execz .LBB26_18
; %bb.17:
	v_lshl_add_u64 v[6:7], v[6:7], 3, v[10:11]
	v_mov_b32_e32 v9, v2
	global_load_b64 v[10:11], v[6:7], off
	v_pk_mul_f32 v[8:9], v[0:1], v[8:9] op_sel:[1,0]
	s_delay_alu instid0(VALU_DEP_1) | instskip(SKIP_3) | instid1(VALU_DEP_3)
	v_pk_fma_f32 v[0:1], v[2:3], v[0:1], v[8:9] op_sel_hi:[1,0,1]
	v_xor_b32_e32 v2, 0x80000000, v5
	v_mov_b32_e32 v3, v4
                                        ; implicit-def: $vgpr8
	s_wait_loadcnt 0x0
	v_pk_fma_f32 v[0:1], v[4:5], v[10:11], v[0:1] op_sel_hi:[1,0,1]
	s_delay_alu instid0(VALU_DEP_1)
	v_pk_fma_f32 v[0:1], v[2:3], v[10:11], v[0:1] op_sel:[0,1,0]
                                        ; implicit-def: $vgpr10_vgpr11
                                        ; implicit-def: $vgpr2_vgpr3
	global_store_b64 v[6:7], v[0:1], off
                                        ; implicit-def: $vgpr6
                                        ; implicit-def: $vgpr0_vgpr1
.LBB26_18:
	s_wait_xcnt 0x0
	s_and_not1_saveexec_b32 s0, s0
	s_cbranch_execz .LBB26_20
; %bb.19:
	v_mov_b32_e32 v9, v2
	v_lshl_add_u64 v[6:7], v[6:7], 3, v[10:11]
	s_delay_alu instid0(VALU_DEP_2) | instskip(NEXT) | instid1(VALU_DEP_1)
	v_pk_mul_f32 v[4:5], v[0:1], v[8:9] op_sel:[1,0]
	v_pk_fma_f32 v[0:1], v[2:3], v[0:1], v[4:5] op_sel_hi:[1,0,1]
	global_store_b64 v[6:7], v[0:1], off
.LBB26_20:
	s_endpgm
	.section	.rodata,"a",@progbits
	.p2align	6, 0x0
	.amdhsa_kernel _ZN9rocsparseL29gebsrmm_small_blockdim_kernelILi1ELi4ELi4ELi16E21rocsparse_complex_numIfEEEv20rocsparse_direction_20rocsparse_operation_iiNS_24const_host_device_scalarIT3_EEPKiS9_PKS6_iiSB_lS7_PS6_l21rocsparse_index_base_b
		.amdhsa_group_segment_fixed_size 640
		.amdhsa_private_segment_fixed_size 0
		.amdhsa_kernarg_size 104
		.amdhsa_user_sgpr_count 2
		.amdhsa_user_sgpr_dispatch_ptr 0
		.amdhsa_user_sgpr_queue_ptr 0
		.amdhsa_user_sgpr_kernarg_segment_ptr 1
		.amdhsa_user_sgpr_dispatch_id 0
		.amdhsa_user_sgpr_kernarg_preload_length 0
		.amdhsa_user_sgpr_kernarg_preload_offset 0
		.amdhsa_user_sgpr_private_segment_size 0
		.amdhsa_wavefront_size32 1
		.amdhsa_uses_dynamic_stack 0
		.amdhsa_enable_private_segment 0
		.amdhsa_system_sgpr_workgroup_id_x 1
		.amdhsa_system_sgpr_workgroup_id_y 1
		.amdhsa_system_sgpr_workgroup_id_z 0
		.amdhsa_system_sgpr_workgroup_info 0
		.amdhsa_system_vgpr_workitem_id 1
		.amdhsa_next_free_vgpr 36
		.amdhsa_next_free_sgpr 24
		.amdhsa_named_barrier_count 0
		.amdhsa_reserve_vcc 1
		.amdhsa_float_round_mode_32 0
		.amdhsa_float_round_mode_16_64 0
		.amdhsa_float_denorm_mode_32 3
		.amdhsa_float_denorm_mode_16_64 3
		.amdhsa_fp16_overflow 0
		.amdhsa_memory_ordered 1
		.amdhsa_forward_progress 1
		.amdhsa_inst_pref_size 10
		.amdhsa_round_robin_scheduling 0
		.amdhsa_exception_fp_ieee_invalid_op 0
		.amdhsa_exception_fp_denorm_src 0
		.amdhsa_exception_fp_ieee_div_zero 0
		.amdhsa_exception_fp_ieee_overflow 0
		.amdhsa_exception_fp_ieee_underflow 0
		.amdhsa_exception_fp_ieee_inexact 0
		.amdhsa_exception_int_div_zero 0
	.end_amdhsa_kernel
	.section	.text._ZN9rocsparseL29gebsrmm_small_blockdim_kernelILi1ELi4ELi4ELi16E21rocsparse_complex_numIfEEEv20rocsparse_direction_20rocsparse_operation_iiNS_24const_host_device_scalarIT3_EEPKiS9_PKS6_iiSB_lS7_PS6_l21rocsparse_index_base_b,"axG",@progbits,_ZN9rocsparseL29gebsrmm_small_blockdim_kernelILi1ELi4ELi4ELi16E21rocsparse_complex_numIfEEEv20rocsparse_direction_20rocsparse_operation_iiNS_24const_host_device_scalarIT3_EEPKiS9_PKS6_iiSB_lS7_PS6_l21rocsparse_index_base_b,comdat
.Lfunc_end26:
	.size	_ZN9rocsparseL29gebsrmm_small_blockdim_kernelILi1ELi4ELi4ELi16E21rocsparse_complex_numIfEEEv20rocsparse_direction_20rocsparse_operation_iiNS_24const_host_device_scalarIT3_EEPKiS9_PKS6_iiSB_lS7_PS6_l21rocsparse_index_base_b, .Lfunc_end26-_ZN9rocsparseL29gebsrmm_small_blockdim_kernelILi1ELi4ELi4ELi16E21rocsparse_complex_numIfEEEv20rocsparse_direction_20rocsparse_operation_iiNS_24const_host_device_scalarIT3_EEPKiS9_PKS6_iiSB_lS7_PS6_l21rocsparse_index_base_b
                                        ; -- End function
	.set _ZN9rocsparseL29gebsrmm_small_blockdim_kernelILi1ELi4ELi4ELi16E21rocsparse_complex_numIfEEEv20rocsparse_direction_20rocsparse_operation_iiNS_24const_host_device_scalarIT3_EEPKiS9_PKS6_iiSB_lS7_PS6_l21rocsparse_index_base_b.num_vgpr, 36
	.set _ZN9rocsparseL29gebsrmm_small_blockdim_kernelILi1ELi4ELi4ELi16E21rocsparse_complex_numIfEEEv20rocsparse_direction_20rocsparse_operation_iiNS_24const_host_device_scalarIT3_EEPKiS9_PKS6_iiSB_lS7_PS6_l21rocsparse_index_base_b.num_agpr, 0
	.set _ZN9rocsparseL29gebsrmm_small_blockdim_kernelILi1ELi4ELi4ELi16E21rocsparse_complex_numIfEEEv20rocsparse_direction_20rocsparse_operation_iiNS_24const_host_device_scalarIT3_EEPKiS9_PKS6_iiSB_lS7_PS6_l21rocsparse_index_base_b.numbered_sgpr, 24
	.set _ZN9rocsparseL29gebsrmm_small_blockdim_kernelILi1ELi4ELi4ELi16E21rocsparse_complex_numIfEEEv20rocsparse_direction_20rocsparse_operation_iiNS_24const_host_device_scalarIT3_EEPKiS9_PKS6_iiSB_lS7_PS6_l21rocsparse_index_base_b.num_named_barrier, 0
	.set _ZN9rocsparseL29gebsrmm_small_blockdim_kernelILi1ELi4ELi4ELi16E21rocsparse_complex_numIfEEEv20rocsparse_direction_20rocsparse_operation_iiNS_24const_host_device_scalarIT3_EEPKiS9_PKS6_iiSB_lS7_PS6_l21rocsparse_index_base_b.private_seg_size, 0
	.set _ZN9rocsparseL29gebsrmm_small_blockdim_kernelILi1ELi4ELi4ELi16E21rocsparse_complex_numIfEEEv20rocsparse_direction_20rocsparse_operation_iiNS_24const_host_device_scalarIT3_EEPKiS9_PKS6_iiSB_lS7_PS6_l21rocsparse_index_base_b.uses_vcc, 1
	.set _ZN9rocsparseL29gebsrmm_small_blockdim_kernelILi1ELi4ELi4ELi16E21rocsparse_complex_numIfEEEv20rocsparse_direction_20rocsparse_operation_iiNS_24const_host_device_scalarIT3_EEPKiS9_PKS6_iiSB_lS7_PS6_l21rocsparse_index_base_b.uses_flat_scratch, 1
	.set _ZN9rocsparseL29gebsrmm_small_blockdim_kernelILi1ELi4ELi4ELi16E21rocsparse_complex_numIfEEEv20rocsparse_direction_20rocsparse_operation_iiNS_24const_host_device_scalarIT3_EEPKiS9_PKS6_iiSB_lS7_PS6_l21rocsparse_index_base_b.has_dyn_sized_stack, 0
	.set _ZN9rocsparseL29gebsrmm_small_blockdim_kernelILi1ELi4ELi4ELi16E21rocsparse_complex_numIfEEEv20rocsparse_direction_20rocsparse_operation_iiNS_24const_host_device_scalarIT3_EEPKiS9_PKS6_iiSB_lS7_PS6_l21rocsparse_index_base_b.has_recursion, 0
	.set _ZN9rocsparseL29gebsrmm_small_blockdim_kernelILi1ELi4ELi4ELi16E21rocsparse_complex_numIfEEEv20rocsparse_direction_20rocsparse_operation_iiNS_24const_host_device_scalarIT3_EEPKiS9_PKS6_iiSB_lS7_PS6_l21rocsparse_index_base_b.has_indirect_call, 0
	.section	.AMDGPU.csdata,"",@progbits
; Kernel info:
; codeLenInByte = 1188
; TotalNumSgprs: 26
; NumVgprs: 36
; ScratchSize: 0
; MemoryBound: 0
; FloatMode: 240
; IeeeMode: 1
; LDSByteSize: 640 bytes/workgroup (compile time only)
; SGPRBlocks: 0
; VGPRBlocks: 2
; NumSGPRsForWavesPerEU: 26
; NumVGPRsForWavesPerEU: 36
; NamedBarCnt: 0
; Occupancy: 16
; WaveLimiterHint : 1
; COMPUTE_PGM_RSRC2:SCRATCH_EN: 0
; COMPUTE_PGM_RSRC2:USER_SGPR: 2
; COMPUTE_PGM_RSRC2:TRAP_HANDLER: 0
; COMPUTE_PGM_RSRC2:TGID_X_EN: 1
; COMPUTE_PGM_RSRC2:TGID_Y_EN: 1
; COMPUTE_PGM_RSRC2:TGID_Z_EN: 0
; COMPUTE_PGM_RSRC2:TIDIG_COMP_CNT: 1
	.section	.text._ZN9rocsparseL29gebsrmm_small_blockdim_kernelILi2ELi1ELi2ELi16E21rocsparse_complex_numIfEEEv20rocsparse_direction_20rocsparse_operation_iiNS_24const_host_device_scalarIT3_EEPKiS9_PKS6_iiSB_lS7_PS6_l21rocsparse_index_base_b,"axG",@progbits,_ZN9rocsparseL29gebsrmm_small_blockdim_kernelILi2ELi1ELi2ELi16E21rocsparse_complex_numIfEEEv20rocsparse_direction_20rocsparse_operation_iiNS_24const_host_device_scalarIT3_EEPKiS9_PKS6_iiSB_lS7_PS6_l21rocsparse_index_base_b,comdat
	.globl	_ZN9rocsparseL29gebsrmm_small_blockdim_kernelILi2ELi1ELi2ELi16E21rocsparse_complex_numIfEEEv20rocsparse_direction_20rocsparse_operation_iiNS_24const_host_device_scalarIT3_EEPKiS9_PKS6_iiSB_lS7_PS6_l21rocsparse_index_base_b ; -- Begin function _ZN9rocsparseL29gebsrmm_small_blockdim_kernelILi2ELi1ELi2ELi16E21rocsparse_complex_numIfEEEv20rocsparse_direction_20rocsparse_operation_iiNS_24const_host_device_scalarIT3_EEPKiS9_PKS6_iiSB_lS7_PS6_l21rocsparse_index_base_b
	.p2align	8
	.type	_ZN9rocsparseL29gebsrmm_small_blockdim_kernelILi2ELi1ELi2ELi16E21rocsparse_complex_numIfEEEv20rocsparse_direction_20rocsparse_operation_iiNS_24const_host_device_scalarIT3_EEPKiS9_PKS6_iiSB_lS7_PS6_l21rocsparse_index_base_b,@function
_ZN9rocsparseL29gebsrmm_small_blockdim_kernelILi2ELi1ELi2ELi16E21rocsparse_complex_numIfEEEv20rocsparse_direction_20rocsparse_operation_iiNS_24const_host_device_scalarIT3_EEPKiS9_PKS6_iiSB_lS7_PS6_l21rocsparse_index_base_b: ; @_ZN9rocsparseL29gebsrmm_small_blockdim_kernelILi2ELi1ELi2ELi16E21rocsparse_complex_numIfEEEv20rocsparse_direction_20rocsparse_operation_iiNS_24const_host_device_scalarIT3_EEPKiS9_PKS6_iiSB_lS7_PS6_l21rocsparse_index_base_b
; %bb.0:
	s_clause 0x2
	s_load_b64 s[6:7], s[0:1], 0x60
	s_load_b64 s[2:3], s[0:1], 0x10
	s_load_b128 s[8:11], s[0:1], 0x40
	v_mov_b32_e32 v1, 0
	s_add_nc_u64 s[4:5], s[0:1], 16
	s_add_nc_u64 s[12:13], s[0:1], 0x48
	s_mov_b32 s20, 0
	s_wait_kmcnt 0x0
	s_bitcmp1_b32 s7, 0
	s_cselect_b32 s3, s5, s3
	s_cselect_b32 s2, s4, s2
	;; [unrolled: 1-line block ×4, first 2 shown]
	s_clause 0x1
	flat_load_b64 v[2:3], v1, s[2:3]
	flat_load_b64 v[4:5], v1, s[4:5]
	s_wait_loadcnt_dscnt 0x101
	v_cmp_eq_f32_e32 vcc_lo, 0, v2
	v_cmp_eq_f32_e64 s3, 0, v3
	s_wait_loadcnt_dscnt 0x0
	v_cmp_eq_f32_e64 s4, 1.0, v4
	v_cmp_eq_f32_e64 s2, 0, v5
	s_and_b32 s3, vcc_lo, s3
	s_and_b32 s4, s4, s2
	s_delay_alu instid0(SALU_CYCLE_1) | instskip(NEXT) | instid1(SALU_CYCLE_1)
	s_and_b32 s3, s3, s4
	s_xor_b32 s3, s3, -1
	s_delay_alu instid0(SALU_CYCLE_1)
	s_and_saveexec_b32 s4, s3
	s_cbranch_execz .LBB27_20
; %bb.1:
	s_load_b96 s[16:18], s[0:1], 0x4
	s_bfe_u32 s3, ttmp6, 0x4000c
	s_and_b32 s4, ttmp6, 15
	s_add_co_i32 s3, s3, 1
	s_mov_b32 s7, 0
	s_mul_i32 s5, ttmp9, s3
	s_getreg_b32 s3, hwreg(HW_REG_IB_STS2, 6, 4)
	s_add_co_i32 s4, s4, s5
	s_cmp_eq_u32 s3, 0
	s_cselect_b32 s10, ttmp9, s4
	s_wait_kmcnt 0x0
	s_cmp_lt_i32 s10, s17
	s_cselect_b32 s19, -1, 0
	s_cmp_ge_i32 s10, s17
	s_cbranch_scc1 .LBB27_3
; %bb.2:
	s_load_b64 s[4:5], s[0:1], 0x18
	s_ashr_i32 s11, s10, 31
	s_delay_alu instid0(SALU_CYCLE_1)
	s_lshl_b64 s[12:13], s[10:11], 2
	s_wait_kmcnt 0x0
	s_add_nc_u64 s[4:5], s[4:5], s[12:13]
	s_load_b64 s[12:13], s[4:5], 0x0
	s_wait_kmcnt 0x0
	s_sub_co_i32 s20, s12, s6
	s_sub_co_i32 s7, s13, s6
.LBB27_3:
	s_bfe_u32 s4, ttmp6, 0x40010
	s_bfe_u32 s5, ttmp6, 0x40004
	s_add_co_i32 s4, s4, 1
	v_bfe_u32 v8, v0, 10, 10
	s_mul_i32 s4, ttmp7, s4
	v_and_b32_e32 v14, 0x3ff, v0
	s_add_co_i32 s5, s5, s4
	s_cmp_eq_u32 s3, 0
	s_cselect_b32 s3, ttmp7, s5
	s_cmp_ge_i32 s20, s7
	v_lshl_add_u32 v6, s3, 4, v8
	v_mov_b32_e32 v1, 0
	v_cmp_gt_u32_e64 s3, 2, v14
	s_delay_alu instid0(VALU_DEP_3) | instskip(SKIP_1) | instid1(VALU_DEP_4)
	v_ashrrev_i32_e32 v7, 31, v6
	v_cmp_gt_i32_e64 s4, s18, v6
	v_mov_b32_e32 v0, v1
	s_cbranch_scc1 .LBB27_15
; %bb.4:
	v_mul_u64_e32 v[12:13], s[8:9], v[6:7]
	s_clause 0x1
	s_load_b64 s[22:23], s[0:1], 0x38
	s_load_b128 s[12:15], s[0:1], 0x20
	v_dual_lshlrev_b32 v1, 1, v8 :: v_dual_lshlrev_b32 v16, 4, v8
	v_cmp_ne_u32_e32 vcc_lo, 0, v14
	v_cmp_eq_u32_e64 s5, 0, v8
	s_xor_b32 s11, s4, -1
	v_add_lshl_u32 v18, v1, v14, 3
	v_mov_b32_e32 v0, 0
	s_or_b32 s11, vcc_lo, s11
	s_and_b32 s5, s3, s5
	s_cmp_lg_u32 s16, 0x6f
	v_mov_b64_e32 v[8:9], 0
	s_cselect_b32 s18, -1, 0
	s_ashr_i32 s21, s20, 31
	v_lshl_add_u32 v15, v14, 3, 0x100
	v_lshl_add_u32 v17, s20, 1, v14
	v_add_nc_u32_e32 v19, 0x100, v18
	v_mov_b32_e32 v1, v0
	s_lshl_b64 s[16:17], s[20:21], 2
	s_wait_kmcnt 0x0
	v_lshl_add_u64 v[10:11], v[6:7], 3, s[22:23]
	s_add_nc_u64 s[12:13], s[12:13], s[16:17]
	v_lshl_add_u64 v[12:13], v[12:13], 3, s[22:23]
	s_branch .LBB27_6
.LBB27_5:                               ;   in Loop: Header=BB27_6 Depth=1
	s_or_b32 exec_lo, exec_lo, s16
	s_wait_dscnt 0x0
	; wave barrier
	ds_load_b64 v[20:21], v16
	ds_load_b64 v[22:23], v15
	v_add_nc_u32_e32 v17, 2, v17
	s_add_co_i32 s20, s20, 1
	s_add_nc_u64 s[12:13], s[12:13], 4
	s_cmp_ge_i32 s20, s7
	s_wait_dscnt 0x0
	; wave barrier
	v_pk_fma_f32 v[0:1], v[22:23], v[20:21], v[0:1] op_sel_hi:[1,0,1]
	s_delay_alu instid0(VALU_DEP_1)
	v_pk_fma_f32 v[0:1], v[22:23], v[20:21], v[0:1] op_sel:[1,1,0] op_sel_hi:[0,1,1] neg_lo:[1,0,0]
	s_cbranch_scc1 .LBB27_15
.LBB27_6:                               ; =>This Inner Loop Header: Depth=1
	s_and_saveexec_b32 s16, s11
	s_delay_alu instid0(SALU_CYCLE_1)
	s_xor_b32 s16, exec_lo, s16
; %bb.7:                                ;   in Loop: Header=BB27_6 Depth=1
	ds_store_b64 v18, v[8:9]
; %bb.8:                                ;   in Loop: Header=BB27_6 Depth=1
	s_and_not1_saveexec_b32 s21, s16
	s_cbranch_execz .LBB27_13
; %bb.9:                                ;   in Loop: Header=BB27_6 Depth=1
	s_load_b32 s16, s[12:13], 0x0
	s_mov_b32 s22, -1
	s_and_b32 vcc_lo, exec_lo, s18
	s_wait_kmcnt 0x0
	s_sub_co_i32 s16, s16, s6
	s_delay_alu instid0(SALU_CYCLE_1)
	s_ashr_i32 s17, s16, 31
	s_cbranch_vccz .LBB27_11
; %bb.10:                               ;   in Loop: Header=BB27_6 Depth=1
	s_mul_u64 s[22:23], s[8:9], s[16:17]
	s_delay_alu instid0(SALU_CYCLE_1)
	v_lshl_add_u64 v[20:21], s[22:23], 3, v[10:11]
	s_mov_b32 s22, 0
	global_load_b64 v[20:21], v[20:21], off
	s_wait_loadcnt 0x0
	ds_store_b64 v18, v[20:21]
.LBB27_11:                              ;   in Loop: Header=BB27_6 Depth=1
	s_and_not1_b32 vcc_lo, exec_lo, s22
	s_cbranch_vccnz .LBB27_13
; %bb.12:                               ;   in Loop: Header=BB27_6 Depth=1
	v_lshl_add_u64 v[20:21], s[16:17], 3, v[12:13]
	global_load_b64 v[20:21], v[20:21], off
	s_wait_loadcnt 0x0
	ds_store_b64 v18, v[20:21]
.LBB27_13:                              ;   in Loop: Header=BB27_6 Depth=1
	s_or_b32 exec_lo, exec_lo, s21
	s_and_saveexec_b32 s16, s5
	s_cbranch_execz .LBB27_5
; %bb.14:                               ;   in Loop: Header=BB27_6 Depth=1
	global_load_b64 v[20:21], v17, s[14:15] scale_offset
	s_wait_loadcnt 0x0
	ds_store_b64 v19, v[20:21]
	s_branch .LBB27_5
.LBB27_15:
	s_load_b64 s[6:7], s[0:1], 0x50
	s_and_b32 s4, s19, s4
	s_delay_alu instid0(SALU_CYCLE_1) | instskip(NEXT) | instid1(SALU_CYCLE_1)
	s_and_b32 s3, s4, s3
	s_and_b32 exec_lo, exec_lo, s3
	s_cbranch_execz .LBB27_20
; %bb.16:
	s_wait_xcnt 0x0
	s_load_b64 s[0:1], s[0:1], 0x58
	v_cmp_neq_f32_e32 vcc_lo, 0, v4
	s_wait_kmcnt 0x0
	v_mul_u64_e32 v[8:9], s[0:1], v[6:7]
	v_lshl_add_u32 v6, s10, 1, v14
	s_xor_b32 s0, s2, -1
	s_delay_alu instid0(SALU_CYCLE_1) | instskip(NEXT) | instid1(VALU_DEP_1)
	s_or_b32 s0, vcc_lo, s0
	v_ashrrev_i32_e32 v7, 31, v6
	s_delay_alu instid0(VALU_DEP_3) | instskip(SKIP_2) | instid1(SALU_CYCLE_1)
	v_lshl_add_u64 v[10:11], v[8:9], 3, s[6:7]
	v_xor_b32_e32 v8, 0x80000000, v3
	s_and_saveexec_b32 s1, s0
	s_xor_b32 s0, exec_lo, s1
	s_cbranch_execz .LBB27_18
; %bb.17:
	v_lshl_add_u64 v[6:7], v[6:7], 3, v[10:11]
	v_mov_b32_e32 v9, v2
	global_load_b64 v[10:11], v[6:7], off
	v_pk_mul_f32 v[8:9], v[0:1], v[8:9] op_sel:[1,0]
	s_delay_alu instid0(VALU_DEP_1) | instskip(SKIP_3) | instid1(VALU_DEP_3)
	v_pk_fma_f32 v[0:1], v[2:3], v[0:1], v[8:9] op_sel_hi:[1,0,1]
	v_xor_b32_e32 v2, 0x80000000, v5
	v_mov_b32_e32 v3, v4
                                        ; implicit-def: $vgpr8
	s_wait_loadcnt 0x0
	v_pk_fma_f32 v[0:1], v[4:5], v[10:11], v[0:1] op_sel_hi:[1,0,1]
	s_delay_alu instid0(VALU_DEP_1)
	v_pk_fma_f32 v[0:1], v[2:3], v[10:11], v[0:1] op_sel:[0,1,0]
                                        ; implicit-def: $vgpr10_vgpr11
                                        ; implicit-def: $vgpr2_vgpr3
	global_store_b64 v[6:7], v[0:1], off
                                        ; implicit-def: $vgpr6
                                        ; implicit-def: $vgpr0_vgpr1
.LBB27_18:
	s_wait_xcnt 0x0
	s_and_not1_saveexec_b32 s0, s0
	s_cbranch_execz .LBB27_20
; %bb.19:
	v_mov_b32_e32 v9, v2
	v_lshl_add_u64 v[6:7], v[6:7], 3, v[10:11]
	s_delay_alu instid0(VALU_DEP_2) | instskip(NEXT) | instid1(VALU_DEP_1)
	v_pk_mul_f32 v[4:5], v[0:1], v[8:9] op_sel:[1,0]
	v_pk_fma_f32 v[0:1], v[2:3], v[0:1], v[4:5] op_sel_hi:[1,0,1]
	global_store_b64 v[6:7], v[0:1], off
.LBB27_20:
	s_endpgm
	.section	.rodata,"a",@progbits
	.p2align	6, 0x0
	.amdhsa_kernel _ZN9rocsparseL29gebsrmm_small_blockdim_kernelILi2ELi1ELi2ELi16E21rocsparse_complex_numIfEEEv20rocsparse_direction_20rocsparse_operation_iiNS_24const_host_device_scalarIT3_EEPKiS9_PKS6_iiSB_lS7_PS6_l21rocsparse_index_base_b
		.amdhsa_group_segment_fixed_size 288
		.amdhsa_private_segment_fixed_size 0
		.amdhsa_kernarg_size 104
		.amdhsa_user_sgpr_count 2
		.amdhsa_user_sgpr_dispatch_ptr 0
		.amdhsa_user_sgpr_queue_ptr 0
		.amdhsa_user_sgpr_kernarg_segment_ptr 1
		.amdhsa_user_sgpr_dispatch_id 0
		.amdhsa_user_sgpr_kernarg_preload_length 0
		.amdhsa_user_sgpr_kernarg_preload_offset 0
		.amdhsa_user_sgpr_private_segment_size 0
		.amdhsa_wavefront_size32 1
		.amdhsa_uses_dynamic_stack 0
		.amdhsa_enable_private_segment 0
		.amdhsa_system_sgpr_workgroup_id_x 1
		.amdhsa_system_sgpr_workgroup_id_y 1
		.amdhsa_system_sgpr_workgroup_id_z 0
		.amdhsa_system_sgpr_workgroup_info 0
		.amdhsa_system_vgpr_workitem_id 1
		.amdhsa_next_free_vgpr 24
		.amdhsa_next_free_sgpr 24
		.amdhsa_named_barrier_count 0
		.amdhsa_reserve_vcc 1
		.amdhsa_float_round_mode_32 0
		.amdhsa_float_round_mode_16_64 0
		.amdhsa_float_denorm_mode_32 3
		.amdhsa_float_denorm_mode_16_64 3
		.amdhsa_fp16_overflow 0
		.amdhsa_memory_ordered 1
		.amdhsa_forward_progress 1
		.amdhsa_inst_pref_size 9
		.amdhsa_round_robin_scheduling 0
		.amdhsa_exception_fp_ieee_invalid_op 0
		.amdhsa_exception_fp_denorm_src 0
		.amdhsa_exception_fp_ieee_div_zero 0
		.amdhsa_exception_fp_ieee_overflow 0
		.amdhsa_exception_fp_ieee_underflow 0
		.amdhsa_exception_fp_ieee_inexact 0
		.amdhsa_exception_int_div_zero 0
	.end_amdhsa_kernel
	.section	.text._ZN9rocsparseL29gebsrmm_small_blockdim_kernelILi2ELi1ELi2ELi16E21rocsparse_complex_numIfEEEv20rocsparse_direction_20rocsparse_operation_iiNS_24const_host_device_scalarIT3_EEPKiS9_PKS6_iiSB_lS7_PS6_l21rocsparse_index_base_b,"axG",@progbits,_ZN9rocsparseL29gebsrmm_small_blockdim_kernelILi2ELi1ELi2ELi16E21rocsparse_complex_numIfEEEv20rocsparse_direction_20rocsparse_operation_iiNS_24const_host_device_scalarIT3_EEPKiS9_PKS6_iiSB_lS7_PS6_l21rocsparse_index_base_b,comdat
.Lfunc_end27:
	.size	_ZN9rocsparseL29gebsrmm_small_blockdim_kernelILi2ELi1ELi2ELi16E21rocsparse_complex_numIfEEEv20rocsparse_direction_20rocsparse_operation_iiNS_24const_host_device_scalarIT3_EEPKiS9_PKS6_iiSB_lS7_PS6_l21rocsparse_index_base_b, .Lfunc_end27-_ZN9rocsparseL29gebsrmm_small_blockdim_kernelILi2ELi1ELi2ELi16E21rocsparse_complex_numIfEEEv20rocsparse_direction_20rocsparse_operation_iiNS_24const_host_device_scalarIT3_EEPKiS9_PKS6_iiSB_lS7_PS6_l21rocsparse_index_base_b
                                        ; -- End function
	.set _ZN9rocsparseL29gebsrmm_small_blockdim_kernelILi2ELi1ELi2ELi16E21rocsparse_complex_numIfEEEv20rocsparse_direction_20rocsparse_operation_iiNS_24const_host_device_scalarIT3_EEPKiS9_PKS6_iiSB_lS7_PS6_l21rocsparse_index_base_b.num_vgpr, 24
	.set _ZN9rocsparseL29gebsrmm_small_blockdim_kernelILi2ELi1ELi2ELi16E21rocsparse_complex_numIfEEEv20rocsparse_direction_20rocsparse_operation_iiNS_24const_host_device_scalarIT3_EEPKiS9_PKS6_iiSB_lS7_PS6_l21rocsparse_index_base_b.num_agpr, 0
	.set _ZN9rocsparseL29gebsrmm_small_blockdim_kernelILi2ELi1ELi2ELi16E21rocsparse_complex_numIfEEEv20rocsparse_direction_20rocsparse_operation_iiNS_24const_host_device_scalarIT3_EEPKiS9_PKS6_iiSB_lS7_PS6_l21rocsparse_index_base_b.numbered_sgpr, 24
	.set _ZN9rocsparseL29gebsrmm_small_blockdim_kernelILi2ELi1ELi2ELi16E21rocsparse_complex_numIfEEEv20rocsparse_direction_20rocsparse_operation_iiNS_24const_host_device_scalarIT3_EEPKiS9_PKS6_iiSB_lS7_PS6_l21rocsparse_index_base_b.num_named_barrier, 0
	.set _ZN9rocsparseL29gebsrmm_small_blockdim_kernelILi2ELi1ELi2ELi16E21rocsparse_complex_numIfEEEv20rocsparse_direction_20rocsparse_operation_iiNS_24const_host_device_scalarIT3_EEPKiS9_PKS6_iiSB_lS7_PS6_l21rocsparse_index_base_b.private_seg_size, 0
	.set _ZN9rocsparseL29gebsrmm_small_blockdim_kernelILi2ELi1ELi2ELi16E21rocsparse_complex_numIfEEEv20rocsparse_direction_20rocsparse_operation_iiNS_24const_host_device_scalarIT3_EEPKiS9_PKS6_iiSB_lS7_PS6_l21rocsparse_index_base_b.uses_vcc, 1
	.set _ZN9rocsparseL29gebsrmm_small_blockdim_kernelILi2ELi1ELi2ELi16E21rocsparse_complex_numIfEEEv20rocsparse_direction_20rocsparse_operation_iiNS_24const_host_device_scalarIT3_EEPKiS9_PKS6_iiSB_lS7_PS6_l21rocsparse_index_base_b.uses_flat_scratch, 1
	.set _ZN9rocsparseL29gebsrmm_small_blockdim_kernelILi2ELi1ELi2ELi16E21rocsparse_complex_numIfEEEv20rocsparse_direction_20rocsparse_operation_iiNS_24const_host_device_scalarIT3_EEPKiS9_PKS6_iiSB_lS7_PS6_l21rocsparse_index_base_b.has_dyn_sized_stack, 0
	.set _ZN9rocsparseL29gebsrmm_small_blockdim_kernelILi2ELi1ELi2ELi16E21rocsparse_complex_numIfEEEv20rocsparse_direction_20rocsparse_operation_iiNS_24const_host_device_scalarIT3_EEPKiS9_PKS6_iiSB_lS7_PS6_l21rocsparse_index_base_b.has_recursion, 0
	.set _ZN9rocsparseL29gebsrmm_small_blockdim_kernelILi2ELi1ELi2ELi16E21rocsparse_complex_numIfEEEv20rocsparse_direction_20rocsparse_operation_iiNS_24const_host_device_scalarIT3_EEPKiS9_PKS6_iiSB_lS7_PS6_l21rocsparse_index_base_b.has_indirect_call, 0
	.section	.AMDGPU.csdata,"",@progbits
; Kernel info:
; codeLenInByte = 1056
; TotalNumSgprs: 26
; NumVgprs: 24
; ScratchSize: 0
; MemoryBound: 0
; FloatMode: 240
; IeeeMode: 1
; LDSByteSize: 288 bytes/workgroup (compile time only)
; SGPRBlocks: 0
; VGPRBlocks: 1
; NumSGPRsForWavesPerEU: 26
; NumVGPRsForWavesPerEU: 24
; NamedBarCnt: 0
; Occupancy: 16
; WaveLimiterHint : 1
; COMPUTE_PGM_RSRC2:SCRATCH_EN: 0
; COMPUTE_PGM_RSRC2:USER_SGPR: 2
; COMPUTE_PGM_RSRC2:TRAP_HANDLER: 0
; COMPUTE_PGM_RSRC2:TGID_X_EN: 1
; COMPUTE_PGM_RSRC2:TGID_Y_EN: 1
; COMPUTE_PGM_RSRC2:TGID_Z_EN: 0
; COMPUTE_PGM_RSRC2:TIDIG_COMP_CNT: 1
	.section	.text._ZN9rocsparseL29gebsrmm_small_blockdim_kernelILi2ELi3ELi3ELi16E21rocsparse_complex_numIfEEEv20rocsparse_direction_20rocsparse_operation_iiNS_24const_host_device_scalarIT3_EEPKiS9_PKS6_iiSB_lS7_PS6_l21rocsparse_index_base_b,"axG",@progbits,_ZN9rocsparseL29gebsrmm_small_blockdim_kernelILi2ELi3ELi3ELi16E21rocsparse_complex_numIfEEEv20rocsparse_direction_20rocsparse_operation_iiNS_24const_host_device_scalarIT3_EEPKiS9_PKS6_iiSB_lS7_PS6_l21rocsparse_index_base_b,comdat
	.globl	_ZN9rocsparseL29gebsrmm_small_blockdim_kernelILi2ELi3ELi3ELi16E21rocsparse_complex_numIfEEEv20rocsparse_direction_20rocsparse_operation_iiNS_24const_host_device_scalarIT3_EEPKiS9_PKS6_iiSB_lS7_PS6_l21rocsparse_index_base_b ; -- Begin function _ZN9rocsparseL29gebsrmm_small_blockdim_kernelILi2ELi3ELi3ELi16E21rocsparse_complex_numIfEEEv20rocsparse_direction_20rocsparse_operation_iiNS_24const_host_device_scalarIT3_EEPKiS9_PKS6_iiSB_lS7_PS6_l21rocsparse_index_base_b
	.p2align	8
	.type	_ZN9rocsparseL29gebsrmm_small_blockdim_kernelILi2ELi3ELi3ELi16E21rocsparse_complex_numIfEEEv20rocsparse_direction_20rocsparse_operation_iiNS_24const_host_device_scalarIT3_EEPKiS9_PKS6_iiSB_lS7_PS6_l21rocsparse_index_base_b,@function
_ZN9rocsparseL29gebsrmm_small_blockdim_kernelILi2ELi3ELi3ELi16E21rocsparse_complex_numIfEEEv20rocsparse_direction_20rocsparse_operation_iiNS_24const_host_device_scalarIT3_EEPKiS9_PKS6_iiSB_lS7_PS6_l21rocsparse_index_base_b: ; @_ZN9rocsparseL29gebsrmm_small_blockdim_kernelILi2ELi3ELi3ELi16E21rocsparse_complex_numIfEEEv20rocsparse_direction_20rocsparse_operation_iiNS_24const_host_device_scalarIT3_EEPKiS9_PKS6_iiSB_lS7_PS6_l21rocsparse_index_base_b
; %bb.0:
	s_clause 0x2
	s_load_b64 s[6:7], s[0:1], 0x60
	s_load_b64 s[2:3], s[0:1], 0x10
	s_load_b128 s[8:11], s[0:1], 0x40
	v_mov_b32_e32 v1, 0
	s_add_nc_u64 s[4:5], s[0:1], 16
	s_add_nc_u64 s[12:13], s[0:1], 0x48
	s_mov_b32 s20, 0
	s_wait_kmcnt 0x0
	s_bitcmp1_b32 s7, 0
	s_cselect_b32 s3, s5, s3
	s_cselect_b32 s2, s4, s2
	;; [unrolled: 1-line block ×4, first 2 shown]
	s_clause 0x1
	flat_load_b64 v[2:3], v1, s[2:3]
	flat_load_b64 v[4:5], v1, s[4:5]
	s_wait_loadcnt_dscnt 0x101
	v_cmp_eq_f32_e32 vcc_lo, 0, v2
	v_cmp_eq_f32_e64 s3, 0, v3
	s_wait_loadcnt_dscnt 0x0
	v_cmp_eq_f32_e64 s4, 1.0, v4
	v_cmp_eq_f32_e64 s2, 0, v5
	s_and_b32 s3, vcc_lo, s3
	s_and_b32 s4, s4, s2
	s_delay_alu instid0(SALU_CYCLE_1) | instskip(NEXT) | instid1(SALU_CYCLE_1)
	s_and_b32 s3, s3, s4
	s_xor_b32 s3, s3, -1
	s_delay_alu instid0(SALU_CYCLE_1)
	s_and_saveexec_b32 s4, s3
	s_cbranch_execz .LBB28_20
; %bb.1:
	s_load_b128 s[16:19], s[0:1], 0x0
	s_bfe_u32 s3, ttmp6, 0x4000c
	s_and_b32 s4, ttmp6, 15
	s_add_co_i32 s3, s3, 1
	s_mov_b32 s7, 0
	s_mul_i32 s5, ttmp9, s3
	s_getreg_b32 s3, hwreg(HW_REG_IB_STS2, 6, 4)
	s_add_co_i32 s4, s4, s5
	s_cmp_eq_u32 s3, 0
	s_cselect_b32 s10, ttmp9, s4
	s_wait_kmcnt 0x0
	s_cmp_lt_i32 s10, s18
	s_cselect_b32 s22, -1, 0
	s_cmp_ge_i32 s10, s18
	s_cbranch_scc1 .LBB28_3
; %bb.2:
	s_load_b64 s[4:5], s[0:1], 0x18
	s_ashr_i32 s11, s10, 31
	s_delay_alu instid0(SALU_CYCLE_1)
	s_lshl_b64 s[12:13], s[10:11], 2
	s_wait_kmcnt 0x0
	s_add_nc_u64 s[4:5], s[4:5], s[12:13]
	s_load_b64 s[12:13], s[4:5], 0x0
	s_wait_kmcnt 0x0
	s_sub_co_i32 s20, s12, s6
	s_sub_co_i32 s7, s13, s6
.LBB28_3:
	s_bfe_u32 s4, ttmp6, 0x40010
	s_bfe_u32 s5, ttmp6, 0x40004
	s_add_co_i32 s4, s4, 1
	v_bfe_u32 v8, v0, 10, 10
	s_mul_i32 s4, ttmp7, s4
	v_and_b32_e32 v14, 0x3ff, v0
	s_add_co_i32 s5, s5, s4
	s_cmp_eq_u32 s3, 0
	s_cselect_b32 s3, ttmp7, s5
	s_cmp_ge_i32 s20, s7
	v_lshl_add_u32 v6, s3, 4, v8
	v_mov_b32_e32 v1, 0
	v_cmp_gt_u32_e64 s3, 2, v14
	s_delay_alu instid0(VALU_DEP_3) | instskip(SKIP_1) | instid1(VALU_DEP_4)
	v_ashrrev_i32_e32 v7, 31, v6
	v_cmp_gt_i32_e64 s4, s19, v6
	v_mov_b32_e32 v0, v1
	s_cbranch_scc1 .LBB28_15
; %bb.4:
	v_mul_u64_e32 v[10:11], s[8:9], v[6:7]
	s_clause 0x1
	s_load_b64 s[24:25], s[0:1], 0x38
	s_load_b128 s[12:15], s[0:1], 0x20
	v_cmp_lt_u32_e32 vcc_lo, 2, v14
	v_cmp_gt_u32_e64 s5, 3, v8
	v_mad_u32_u24 v12, v8, 3, v14
	s_xor_b32 s11, s4, -1
	v_mul_u32_u24_e32 v9, 3, v8
	s_or_b32 s11, s11, vcc_lo
	s_and_b32 s5, s3, s5
	s_cmp_lg_u32 s17, 0x6f
	v_lshlrev_b32_e32 v0, 3, v14
	v_mad_u32_u24 v13, v14, 3, v8
	v_sub_nc_u32_e32 v8, v12, v8
	s_cselect_b32 s18, -1, 0
	s_cmp_eq_u32 s16, 0
	v_dual_lshlrev_b32 v15, 3, v12 :: v_dual_lshlrev_b32 v17, 3, v9
	s_cselect_b32 vcc_lo, -1, 0
	v_dual_mov_b32 v1, 0 :: v_dual_cndmask_b32 v8, v8, v13
	v_mov_b64_e32 v[12:13], 0
	s_ashr_i32 s21, s20, 31
	v_add_nc_u32_e32 v16, 0x180, v0
	v_add_nc_u32_e32 v19, 0x180, v15
	v_mad_u32 v18, s20, 6, v8
	s_wait_kmcnt 0x0
	v_lshl_add_u64 v[8:9], v[6:7], 3, s[24:25]
	s_lshl_b64 s[16:17], s[20:21], 2
	s_delay_alu instid0(SALU_CYCLE_1) | instskip(SKIP_1) | instid1(VALU_DEP_1)
	s_add_nc_u64 s[12:13], s[12:13], s[16:17]
	v_lshl_add_u64 v[10:11], v[10:11], 3, s[24:25]
	v_add_nc_u64_e32 v[10:11], v[10:11], v[0:1]
	v_mov_b32_e32 v0, v1
	s_branch .LBB28_6
.LBB28_5:                               ;   in Loop: Header=BB28_6 Depth=1
	s_or_b32 exec_lo, exec_lo, s16
	s_wait_dscnt 0x0
	s_barrier_signal -1
	s_barrier_wait -1
	ds_load_2addr_b64 v[20:23], v17 offset1:1
	ds_load_2addr_b64 v[24:27], v16 offset1:3
	ds_load_b64 v[28:29], v17 offset:16
	ds_load_b64 v[30:31], v16 offset:48
	s_add_co_i32 s20, s20, 1
	s_add_nc_u64 s[12:13], s[12:13], 4
	s_cmp_ge_i32 s20, s7
	s_wait_dscnt 0x0
	s_barrier_signal -1
	s_barrier_wait -1
	v_add_nc_u32_e32 v18, 6, v18
	v_pk_fma_f32 v[0:1], v[24:25], v[20:21], v[0:1] op_sel_hi:[1,0,1]
	s_delay_alu instid0(VALU_DEP_1) | instskip(SKIP_1) | instid1(VALU_DEP_2)
	v_pk_fma_f32 v[0:1], v[24:25], v[20:21], v[0:1] op_sel:[1,1,0] op_sel_hi:[0,1,1] neg_lo:[1,0,0]
	v_mov_b32_e32 v20, v23
	v_pk_fma_f32 v[0:1], v[26:27], v[22:23], v[0:1] op_sel_hi:[1,0,1]
	s_delay_alu instid0(VALU_DEP_1) | instskip(NEXT) | instid1(VALU_DEP_1)
	v_pk_fma_f32 v[0:1], v[26:27], v[20:21], v[0:1] op_sel:[1,0,0] op_sel_hi:[0,0,1] neg_lo:[1,0,0]
	v_pk_fma_f32 v[0:1], v[30:31], v[28:29], v[0:1] op_sel_hi:[1,0,1]
	s_delay_alu instid0(VALU_DEP_1)
	v_pk_fma_f32 v[0:1], v[30:31], v[28:29], v[0:1] op_sel:[1,1,0] op_sel_hi:[0,1,1] neg_lo:[1,0,0]
	s_cbranch_scc1 .LBB28_15
.LBB28_6:                               ; =>This Inner Loop Header: Depth=1
	s_and_saveexec_b32 s16, s11
	s_delay_alu instid0(SALU_CYCLE_1)
	s_xor_b32 s16, exec_lo, s16
; %bb.7:                                ;   in Loop: Header=BB28_6 Depth=1
	ds_store_b64 v15, v[12:13]
; %bb.8:                                ;   in Loop: Header=BB28_6 Depth=1
	s_and_not1_saveexec_b32 s19, s16
	s_cbranch_execz .LBB28_13
; %bb.9:                                ;   in Loop: Header=BB28_6 Depth=1
	s_load_b32 s16, s[12:13], 0x0
	s_mov_b32 s17, -1
	s_and_b32 vcc_lo, exec_lo, s18
	s_wait_kmcnt 0x0
	s_sub_co_i32 s16, s16, s6
	s_delay_alu instid0(SALU_CYCLE_1)
	s_mul_i32 s16, s16, 3
	s_cbranch_vccz .LBB28_11
; %bb.10:                               ;   in Loop: Header=BB28_6 Depth=1
	v_add_nc_u32_e32 v20, s16, v14
	s_mov_b32 s17, 0
	s_delay_alu instid0(VALU_DEP_1) | instskip(NEXT) | instid1(VALU_DEP_1)
	v_ashrrev_i32_e32 v21, 31, v20
	v_mul_u64_e32 v[20:21], s[8:9], v[20:21]
	s_delay_alu instid0(VALU_DEP_1)
	v_lshl_add_u64 v[20:21], v[20:21], 3, v[8:9]
	global_load_b64 v[20:21], v[20:21], off
	s_wait_loadcnt 0x0
	ds_store_b64 v15, v[20:21]
.LBB28_11:                              ;   in Loop: Header=BB28_6 Depth=1
	s_and_not1_b32 vcc_lo, exec_lo, s17
	s_cbranch_vccnz .LBB28_13
; %bb.12:                               ;   in Loop: Header=BB28_6 Depth=1
	s_ashr_i32 s17, s16, 31
	s_delay_alu instid0(SALU_CYCLE_1)
	v_lshl_add_u64 v[20:21], s[16:17], 3, v[10:11]
	global_load_b64 v[20:21], v[20:21], off
	s_wait_loadcnt 0x0
	ds_store_b64 v15, v[20:21]
.LBB28_13:                              ;   in Loop: Header=BB28_6 Depth=1
	s_or_b32 exec_lo, exec_lo, s19
	s_and_saveexec_b32 s16, s5
	s_cbranch_execz .LBB28_5
; %bb.14:                               ;   in Loop: Header=BB28_6 Depth=1
	global_load_b64 v[20:21], v18, s[14:15] scale_offset
	s_wait_loadcnt 0x0
	ds_store_b64 v19, v[20:21]
	s_branch .LBB28_5
.LBB28_15:
	s_load_b64 s[6:7], s[0:1], 0x50
	s_and_b32 s4, s22, s4
	s_delay_alu instid0(SALU_CYCLE_1) | instskip(NEXT) | instid1(SALU_CYCLE_1)
	s_and_b32 s3, s4, s3
	s_and_b32 exec_lo, exec_lo, s3
	s_cbranch_execz .LBB28_20
; %bb.16:
	s_wait_xcnt 0x0
	s_load_b64 s[0:1], s[0:1], 0x58
	v_cmp_neq_f32_e32 vcc_lo, 0, v4
	s_wait_kmcnt 0x0
	v_mul_u64_e32 v[8:9], s[0:1], v[6:7]
	v_lshl_add_u32 v6, s10, 1, v14
	s_xor_b32 s0, s2, -1
	s_delay_alu instid0(SALU_CYCLE_1) | instskip(NEXT) | instid1(VALU_DEP_1)
	s_or_b32 s0, vcc_lo, s0
	v_ashrrev_i32_e32 v7, 31, v6
	s_delay_alu instid0(VALU_DEP_3) | instskip(SKIP_2) | instid1(SALU_CYCLE_1)
	v_lshl_add_u64 v[10:11], v[8:9], 3, s[6:7]
	v_xor_b32_e32 v8, 0x80000000, v3
	s_and_saveexec_b32 s1, s0
	s_xor_b32 s0, exec_lo, s1
	s_cbranch_execz .LBB28_18
; %bb.17:
	v_lshl_add_u64 v[6:7], v[6:7], 3, v[10:11]
	v_mov_b32_e32 v9, v2
	global_load_b64 v[10:11], v[6:7], off
	v_pk_mul_f32 v[8:9], v[0:1], v[8:9] op_sel:[1,0]
	s_delay_alu instid0(VALU_DEP_1) | instskip(SKIP_3) | instid1(VALU_DEP_3)
	v_pk_fma_f32 v[0:1], v[2:3], v[0:1], v[8:9] op_sel_hi:[1,0,1]
	v_xor_b32_e32 v2, 0x80000000, v5
	v_mov_b32_e32 v3, v4
                                        ; implicit-def: $vgpr8
	s_wait_loadcnt 0x0
	v_pk_fma_f32 v[0:1], v[4:5], v[10:11], v[0:1] op_sel_hi:[1,0,1]
	s_delay_alu instid0(VALU_DEP_1)
	v_pk_fma_f32 v[0:1], v[2:3], v[10:11], v[0:1] op_sel:[0,1,0]
                                        ; implicit-def: $vgpr10_vgpr11
                                        ; implicit-def: $vgpr2_vgpr3
	global_store_b64 v[6:7], v[0:1], off
                                        ; implicit-def: $vgpr6
                                        ; implicit-def: $vgpr0_vgpr1
.LBB28_18:
	s_wait_xcnt 0x0
	s_and_not1_saveexec_b32 s0, s0
	s_cbranch_execz .LBB28_20
; %bb.19:
	v_mov_b32_e32 v9, v2
	v_lshl_add_u64 v[6:7], v[6:7], 3, v[10:11]
	s_delay_alu instid0(VALU_DEP_2) | instskip(NEXT) | instid1(VALU_DEP_1)
	v_pk_mul_f32 v[4:5], v[0:1], v[8:9] op_sel:[1,0]
	v_pk_fma_f32 v[0:1], v[2:3], v[0:1], v[4:5] op_sel_hi:[1,0,1]
	global_store_b64 v[6:7], v[0:1], off
.LBB28_20:
	s_endpgm
	.section	.rodata,"a",@progbits
	.p2align	6, 0x0
	.amdhsa_kernel _ZN9rocsparseL29gebsrmm_small_blockdim_kernelILi2ELi3ELi3ELi16E21rocsparse_complex_numIfEEEv20rocsparse_direction_20rocsparse_operation_iiNS_24const_host_device_scalarIT3_EEPKiS9_PKS6_iiSB_lS7_PS6_l21rocsparse_index_base_b
		.amdhsa_group_segment_fixed_size 456
		.amdhsa_private_segment_fixed_size 0
		.amdhsa_kernarg_size 104
		.amdhsa_user_sgpr_count 2
		.amdhsa_user_sgpr_dispatch_ptr 0
		.amdhsa_user_sgpr_queue_ptr 0
		.amdhsa_user_sgpr_kernarg_segment_ptr 1
		.amdhsa_user_sgpr_dispatch_id 0
		.amdhsa_user_sgpr_kernarg_preload_length 0
		.amdhsa_user_sgpr_kernarg_preload_offset 0
		.amdhsa_user_sgpr_private_segment_size 0
		.amdhsa_wavefront_size32 1
		.amdhsa_uses_dynamic_stack 0
		.amdhsa_enable_private_segment 0
		.amdhsa_system_sgpr_workgroup_id_x 1
		.amdhsa_system_sgpr_workgroup_id_y 1
		.amdhsa_system_sgpr_workgroup_id_z 0
		.amdhsa_system_sgpr_workgroup_info 0
		.amdhsa_system_vgpr_workitem_id 1
		.amdhsa_next_free_vgpr 32
		.amdhsa_next_free_sgpr 26
		.amdhsa_named_barrier_count 0
		.amdhsa_reserve_vcc 1
		.amdhsa_float_round_mode_32 0
		.amdhsa_float_round_mode_16_64 0
		.amdhsa_float_denorm_mode_32 3
		.amdhsa_float_denorm_mode_16_64 3
		.amdhsa_fp16_overflow 0
		.amdhsa_memory_ordered 1
		.amdhsa_forward_progress 1
		.amdhsa_inst_pref_size 10
		.amdhsa_round_robin_scheduling 0
		.amdhsa_exception_fp_ieee_invalid_op 0
		.amdhsa_exception_fp_denorm_src 0
		.amdhsa_exception_fp_ieee_div_zero 0
		.amdhsa_exception_fp_ieee_overflow 0
		.amdhsa_exception_fp_ieee_underflow 0
		.amdhsa_exception_fp_ieee_inexact 0
		.amdhsa_exception_int_div_zero 0
	.end_amdhsa_kernel
	.section	.text._ZN9rocsparseL29gebsrmm_small_blockdim_kernelILi2ELi3ELi3ELi16E21rocsparse_complex_numIfEEEv20rocsparse_direction_20rocsparse_operation_iiNS_24const_host_device_scalarIT3_EEPKiS9_PKS6_iiSB_lS7_PS6_l21rocsparse_index_base_b,"axG",@progbits,_ZN9rocsparseL29gebsrmm_small_blockdim_kernelILi2ELi3ELi3ELi16E21rocsparse_complex_numIfEEEv20rocsparse_direction_20rocsparse_operation_iiNS_24const_host_device_scalarIT3_EEPKiS9_PKS6_iiSB_lS7_PS6_l21rocsparse_index_base_b,comdat
.Lfunc_end28:
	.size	_ZN9rocsparseL29gebsrmm_small_blockdim_kernelILi2ELi3ELi3ELi16E21rocsparse_complex_numIfEEEv20rocsparse_direction_20rocsparse_operation_iiNS_24const_host_device_scalarIT3_EEPKiS9_PKS6_iiSB_lS7_PS6_l21rocsparse_index_base_b, .Lfunc_end28-_ZN9rocsparseL29gebsrmm_small_blockdim_kernelILi2ELi3ELi3ELi16E21rocsparse_complex_numIfEEEv20rocsparse_direction_20rocsparse_operation_iiNS_24const_host_device_scalarIT3_EEPKiS9_PKS6_iiSB_lS7_PS6_l21rocsparse_index_base_b
                                        ; -- End function
	.set _ZN9rocsparseL29gebsrmm_small_blockdim_kernelILi2ELi3ELi3ELi16E21rocsparse_complex_numIfEEEv20rocsparse_direction_20rocsparse_operation_iiNS_24const_host_device_scalarIT3_EEPKiS9_PKS6_iiSB_lS7_PS6_l21rocsparse_index_base_b.num_vgpr, 32
	.set _ZN9rocsparseL29gebsrmm_small_blockdim_kernelILi2ELi3ELi3ELi16E21rocsparse_complex_numIfEEEv20rocsparse_direction_20rocsparse_operation_iiNS_24const_host_device_scalarIT3_EEPKiS9_PKS6_iiSB_lS7_PS6_l21rocsparse_index_base_b.num_agpr, 0
	.set _ZN9rocsparseL29gebsrmm_small_blockdim_kernelILi2ELi3ELi3ELi16E21rocsparse_complex_numIfEEEv20rocsparse_direction_20rocsparse_operation_iiNS_24const_host_device_scalarIT3_EEPKiS9_PKS6_iiSB_lS7_PS6_l21rocsparse_index_base_b.numbered_sgpr, 26
	.set _ZN9rocsparseL29gebsrmm_small_blockdim_kernelILi2ELi3ELi3ELi16E21rocsparse_complex_numIfEEEv20rocsparse_direction_20rocsparse_operation_iiNS_24const_host_device_scalarIT3_EEPKiS9_PKS6_iiSB_lS7_PS6_l21rocsparse_index_base_b.num_named_barrier, 0
	.set _ZN9rocsparseL29gebsrmm_small_blockdim_kernelILi2ELi3ELi3ELi16E21rocsparse_complex_numIfEEEv20rocsparse_direction_20rocsparse_operation_iiNS_24const_host_device_scalarIT3_EEPKiS9_PKS6_iiSB_lS7_PS6_l21rocsparse_index_base_b.private_seg_size, 0
	.set _ZN9rocsparseL29gebsrmm_small_blockdim_kernelILi2ELi3ELi3ELi16E21rocsparse_complex_numIfEEEv20rocsparse_direction_20rocsparse_operation_iiNS_24const_host_device_scalarIT3_EEPKiS9_PKS6_iiSB_lS7_PS6_l21rocsparse_index_base_b.uses_vcc, 1
	.set _ZN9rocsparseL29gebsrmm_small_blockdim_kernelILi2ELi3ELi3ELi16E21rocsparse_complex_numIfEEEv20rocsparse_direction_20rocsparse_operation_iiNS_24const_host_device_scalarIT3_EEPKiS9_PKS6_iiSB_lS7_PS6_l21rocsparse_index_base_b.uses_flat_scratch, 1
	.set _ZN9rocsparseL29gebsrmm_small_blockdim_kernelILi2ELi3ELi3ELi16E21rocsparse_complex_numIfEEEv20rocsparse_direction_20rocsparse_operation_iiNS_24const_host_device_scalarIT3_EEPKiS9_PKS6_iiSB_lS7_PS6_l21rocsparse_index_base_b.has_dyn_sized_stack, 0
	.set _ZN9rocsparseL29gebsrmm_small_blockdim_kernelILi2ELi3ELi3ELi16E21rocsparse_complex_numIfEEEv20rocsparse_direction_20rocsparse_operation_iiNS_24const_host_device_scalarIT3_EEPKiS9_PKS6_iiSB_lS7_PS6_l21rocsparse_index_base_b.has_recursion, 0
	.set _ZN9rocsparseL29gebsrmm_small_blockdim_kernelILi2ELi3ELi3ELi16E21rocsparse_complex_numIfEEEv20rocsparse_direction_20rocsparse_operation_iiNS_24const_host_device_scalarIT3_EEPKiS9_PKS6_iiSB_lS7_PS6_l21rocsparse_index_base_b.has_indirect_call, 0
	.section	.AMDGPU.csdata,"",@progbits
; Kernel info:
; codeLenInByte = 1188
; TotalNumSgprs: 28
; NumVgprs: 32
; ScratchSize: 0
; MemoryBound: 0
; FloatMode: 240
; IeeeMode: 1
; LDSByteSize: 456 bytes/workgroup (compile time only)
; SGPRBlocks: 0
; VGPRBlocks: 1
; NumSGPRsForWavesPerEU: 28
; NumVGPRsForWavesPerEU: 32
; NamedBarCnt: 0
; Occupancy: 16
; WaveLimiterHint : 1
; COMPUTE_PGM_RSRC2:SCRATCH_EN: 0
; COMPUTE_PGM_RSRC2:USER_SGPR: 2
; COMPUTE_PGM_RSRC2:TRAP_HANDLER: 0
; COMPUTE_PGM_RSRC2:TGID_X_EN: 1
; COMPUTE_PGM_RSRC2:TGID_Y_EN: 1
; COMPUTE_PGM_RSRC2:TGID_Z_EN: 0
; COMPUTE_PGM_RSRC2:TIDIG_COMP_CNT: 1
	.section	.text._ZN9rocsparseL29gebsrmm_small_blockdim_kernelILi2ELi4ELi4ELi16E21rocsparse_complex_numIfEEEv20rocsparse_direction_20rocsparse_operation_iiNS_24const_host_device_scalarIT3_EEPKiS9_PKS6_iiSB_lS7_PS6_l21rocsparse_index_base_b,"axG",@progbits,_ZN9rocsparseL29gebsrmm_small_blockdim_kernelILi2ELi4ELi4ELi16E21rocsparse_complex_numIfEEEv20rocsparse_direction_20rocsparse_operation_iiNS_24const_host_device_scalarIT3_EEPKiS9_PKS6_iiSB_lS7_PS6_l21rocsparse_index_base_b,comdat
	.globl	_ZN9rocsparseL29gebsrmm_small_blockdim_kernelILi2ELi4ELi4ELi16E21rocsparse_complex_numIfEEEv20rocsparse_direction_20rocsparse_operation_iiNS_24const_host_device_scalarIT3_EEPKiS9_PKS6_iiSB_lS7_PS6_l21rocsparse_index_base_b ; -- Begin function _ZN9rocsparseL29gebsrmm_small_blockdim_kernelILi2ELi4ELi4ELi16E21rocsparse_complex_numIfEEEv20rocsparse_direction_20rocsparse_operation_iiNS_24const_host_device_scalarIT3_EEPKiS9_PKS6_iiSB_lS7_PS6_l21rocsparse_index_base_b
	.p2align	8
	.type	_ZN9rocsparseL29gebsrmm_small_blockdim_kernelILi2ELi4ELi4ELi16E21rocsparse_complex_numIfEEEv20rocsparse_direction_20rocsparse_operation_iiNS_24const_host_device_scalarIT3_EEPKiS9_PKS6_iiSB_lS7_PS6_l21rocsparse_index_base_b,@function
_ZN9rocsparseL29gebsrmm_small_blockdim_kernelILi2ELi4ELi4ELi16E21rocsparse_complex_numIfEEEv20rocsparse_direction_20rocsparse_operation_iiNS_24const_host_device_scalarIT3_EEPKiS9_PKS6_iiSB_lS7_PS6_l21rocsparse_index_base_b: ; @_ZN9rocsparseL29gebsrmm_small_blockdim_kernelILi2ELi4ELi4ELi16E21rocsparse_complex_numIfEEEv20rocsparse_direction_20rocsparse_operation_iiNS_24const_host_device_scalarIT3_EEPKiS9_PKS6_iiSB_lS7_PS6_l21rocsparse_index_base_b
; %bb.0:
	s_clause 0x2
	s_load_b64 s[6:7], s[0:1], 0x60
	s_load_b64 s[2:3], s[0:1], 0x10
	s_load_b128 s[8:11], s[0:1], 0x40
	v_mov_b32_e32 v1, 0
	s_add_nc_u64 s[4:5], s[0:1], 16
	s_add_nc_u64 s[12:13], s[0:1], 0x48
	s_mov_b32 s20, 0
	s_wait_kmcnt 0x0
	s_bitcmp1_b32 s7, 0
	s_cselect_b32 s3, s5, s3
	s_cselect_b32 s2, s4, s2
	;; [unrolled: 1-line block ×4, first 2 shown]
	s_clause 0x1
	flat_load_b64 v[2:3], v1, s[2:3]
	flat_load_b64 v[4:5], v1, s[4:5]
	s_wait_loadcnt_dscnt 0x101
	v_cmp_eq_f32_e32 vcc_lo, 0, v2
	v_cmp_eq_f32_e64 s3, 0, v3
	s_wait_loadcnt_dscnt 0x0
	v_cmp_eq_f32_e64 s4, 1.0, v4
	v_cmp_eq_f32_e64 s2, 0, v5
	s_and_b32 s3, vcc_lo, s3
	s_and_b32 s4, s4, s2
	s_delay_alu instid0(SALU_CYCLE_1) | instskip(NEXT) | instid1(SALU_CYCLE_1)
	s_and_b32 s3, s3, s4
	s_xor_b32 s3, s3, -1
	s_delay_alu instid0(SALU_CYCLE_1)
	s_and_saveexec_b32 s4, s3
	s_cbranch_execz .LBB29_20
; %bb.1:
	s_load_b128 s[16:19], s[0:1], 0x0
	s_bfe_u32 s3, ttmp6, 0x4000c
	s_and_b32 s4, ttmp6, 15
	s_add_co_i32 s3, s3, 1
	s_mov_b32 s7, 0
	s_mul_i32 s5, ttmp9, s3
	s_getreg_b32 s3, hwreg(HW_REG_IB_STS2, 6, 4)
	s_add_co_i32 s4, s4, s5
	s_cmp_eq_u32 s3, 0
	s_cselect_b32 s10, ttmp9, s4
	s_wait_kmcnt 0x0
	s_cmp_lt_i32 s10, s18
	s_cselect_b32 s22, -1, 0
	s_cmp_ge_i32 s10, s18
	s_cbranch_scc1 .LBB29_3
; %bb.2:
	s_load_b64 s[4:5], s[0:1], 0x18
	s_ashr_i32 s11, s10, 31
	s_delay_alu instid0(SALU_CYCLE_1)
	s_lshl_b64 s[12:13], s[10:11], 2
	s_wait_kmcnt 0x0
	s_add_nc_u64 s[4:5], s[4:5], s[12:13]
	s_load_b64 s[12:13], s[4:5], 0x0
	s_wait_kmcnt 0x0
	s_sub_co_i32 s20, s12, s6
	s_sub_co_i32 s7, s13, s6
.LBB29_3:
	s_bfe_u32 s4, ttmp6, 0x40010
	s_bfe_u32 s5, ttmp6, 0x40004
	s_add_co_i32 s4, s4, 1
	v_bfe_u32 v8, v0, 10, 10
	s_mul_i32 s4, ttmp7, s4
	v_and_b32_e32 v14, 0x3ff, v0
	s_add_co_i32 s5, s5, s4
	s_cmp_eq_u32 s3, 0
	s_cselect_b32 s3, ttmp7, s5
	s_cmp_ge_i32 s20, s7
	v_lshl_add_u32 v6, s3, 4, v8
	v_mov_b32_e32 v1, 0
	v_cmp_gt_u32_e64 s3, 2, v14
	s_delay_alu instid0(VALU_DEP_3) | instskip(SKIP_1) | instid1(VALU_DEP_4)
	v_ashrrev_i32_e32 v7, 31, v6
	v_cmp_gt_i32_e64 s4, s19, v6
	v_mov_b32_e32 v0, v1
	s_cbranch_scc1 .LBB29_15
; %bb.4:
	v_mul_u64_e32 v[10:11], s[8:9], v[6:7]
	s_clause 0x1
	s_load_b64 s[24:25], s[0:1], 0x38
	s_load_b128 s[12:15], s[0:1], 0x20
	v_cmp_lt_u32_e32 vcc_lo, 3, v14
	v_cmp_gt_u32_e64 s5, 4, v8
	v_lshl_add_u32 v9, v8, 2, v14
	v_dual_lshlrev_b32 v12, 1, v8 :: v_dual_lshlrev_b32 v15, 5, v8
	s_xor_b32 s11, s4, -1
	s_and_b32 s5, s3, s5
	s_or_b32 s11, s11, vcc_lo
	s_cmp_lg_u32 s17, 0x6f
	v_lshl_add_u32 v13, v14, 2, v8
	v_dual_lshlrev_b32 v16, 3, v9 :: v_dual_sub_nc_u32 v8, v9, v12
	s_cselect_b32 s18, -1, 0
	s_cmp_eq_u32 s16, 0
	v_dual_mov_b32 v1, 0 :: v_dual_lshlrev_b32 v0, 3, v14
	s_cselect_b32 vcc_lo, -1, 0
	v_dual_cndmask_b32 v19, v8, v13 :: v_dual_add_nc_u32 v18, 0x200, v16
	v_mov_b64_e32 v[12:13], 0
	s_ashr_i32 s21, s20, 31
	v_add_nc_u32_e32 v17, 0x200, v0
	s_wait_kmcnt 0x0
	v_lshl_add_u64 v[8:9], v[6:7], 3, s[24:25]
	v_lshl_add_u32 v19, s20, 3, v19
	s_lshl_b64 s[16:17], s[20:21], 2
	s_delay_alu instid0(SALU_CYCLE_1) | instskip(SKIP_1) | instid1(VALU_DEP_1)
	s_add_nc_u64 s[12:13], s[12:13], s[16:17]
	v_lshl_add_u64 v[10:11], v[10:11], 3, s[24:25]
	v_add_nc_u64_e32 v[10:11], v[10:11], v[0:1]
	v_mov_b32_e32 v0, v1
	s_branch .LBB29_6
.LBB29_5:                               ;   in Loop: Header=BB29_6 Depth=1
	s_or_b32 exec_lo, exec_lo, s16
	s_wait_dscnt 0x0
	s_barrier_signal -1
	s_barrier_wait -1
	ds_load_2addr_b64 v[20:23], v17 offset1:4
	ds_load_b128 v[24:27], v15
	ds_load_b128 v[28:31], v15 offset:16
	ds_load_2addr_b64 v[32:35], v17 offset0:8 offset1:12
	s_add_co_i32 s20, s20, 1
	s_add_nc_u64 s[12:13], s[12:13], 4
	s_cmp_ge_i32 s20, s7
	s_wait_dscnt 0x0
	s_barrier_signal -1
	s_barrier_wait -1
	v_add_nc_u32_e32 v19, 8, v19
	v_pk_fma_f32 v[0:1], v[20:21], v[24:25], v[0:1] op_sel_hi:[1,0,1]
	s_delay_alu instid0(VALU_DEP_1) | instskip(SKIP_1) | instid1(VALU_DEP_2)
	v_pk_fma_f32 v[0:1], v[20:21], v[24:25], v[0:1] op_sel:[1,1,0] op_sel_hi:[0,1,1] neg_lo:[1,0,0]
	v_mov_b32_e32 v20, v27
	v_pk_fma_f32 v[0:1], v[22:23], v[26:27], v[0:1] op_sel_hi:[1,0,1]
	s_delay_alu instid0(VALU_DEP_1) | instskip(SKIP_1) | instid1(VALU_DEP_2)
	v_pk_fma_f32 v[0:1], v[22:23], v[20:21], v[0:1] op_sel:[1,0,0] op_sel_hi:[0,0,1] neg_lo:[1,0,0]
	v_mov_b32_e32 v20, v31
	v_pk_fma_f32 v[0:1], v[32:33], v[28:29], v[0:1] op_sel_hi:[1,0,1]
	s_delay_alu instid0(VALU_DEP_1) | instskip(NEXT) | instid1(VALU_DEP_1)
	v_pk_fma_f32 v[0:1], v[32:33], v[28:29], v[0:1] op_sel:[1,1,0] op_sel_hi:[0,1,1] neg_lo:[1,0,0]
	v_pk_fma_f32 v[0:1], v[34:35], v[30:31], v[0:1] op_sel_hi:[1,0,1]
	s_delay_alu instid0(VALU_DEP_1)
	v_pk_fma_f32 v[0:1], v[34:35], v[20:21], v[0:1] op_sel:[1,0,0] op_sel_hi:[0,0,1] neg_lo:[1,0,0]
	s_cbranch_scc1 .LBB29_15
.LBB29_6:                               ; =>This Inner Loop Header: Depth=1
	s_and_saveexec_b32 s16, s11
	s_delay_alu instid0(SALU_CYCLE_1)
	s_xor_b32 s16, exec_lo, s16
; %bb.7:                                ;   in Loop: Header=BB29_6 Depth=1
	ds_store_b64 v16, v[12:13]
; %bb.8:                                ;   in Loop: Header=BB29_6 Depth=1
	s_and_not1_saveexec_b32 s19, s16
	s_cbranch_execz .LBB29_13
; %bb.9:                                ;   in Loop: Header=BB29_6 Depth=1
	s_load_b32 s16, s[12:13], 0x0
	s_mov_b32 s17, -1
	s_and_b32 vcc_lo, exec_lo, s18
	s_wait_kmcnt 0x0
	s_sub_co_i32 s16, s16, s6
	s_delay_alu instid0(SALU_CYCLE_1)
	s_lshl_b32 s16, s16, 2
	s_cbranch_vccz .LBB29_11
; %bb.10:                               ;   in Loop: Header=BB29_6 Depth=1
	v_or_b32_e32 v20, s16, v14
	s_mov_b32 s17, 0
	s_delay_alu instid0(VALU_DEP_1) | instskip(NEXT) | instid1(VALU_DEP_1)
	v_ashrrev_i32_e32 v21, 31, v20
	v_mul_u64_e32 v[20:21], s[8:9], v[20:21]
	s_delay_alu instid0(VALU_DEP_1)
	v_lshl_add_u64 v[20:21], v[20:21], 3, v[8:9]
	global_load_b64 v[20:21], v[20:21], off
	s_wait_loadcnt 0x0
	ds_store_b64 v16, v[20:21]
.LBB29_11:                              ;   in Loop: Header=BB29_6 Depth=1
	s_and_not1_b32 vcc_lo, exec_lo, s17
	s_cbranch_vccnz .LBB29_13
; %bb.12:                               ;   in Loop: Header=BB29_6 Depth=1
	s_ashr_i32 s17, s16, 31
	s_delay_alu instid0(SALU_CYCLE_1)
	v_lshl_add_u64 v[20:21], s[16:17], 3, v[10:11]
	global_load_b64 v[20:21], v[20:21], off
	s_wait_loadcnt 0x0
	ds_store_b64 v16, v[20:21]
.LBB29_13:                              ;   in Loop: Header=BB29_6 Depth=1
	s_or_b32 exec_lo, exec_lo, s19
	s_and_saveexec_b32 s16, s5
	s_cbranch_execz .LBB29_5
; %bb.14:                               ;   in Loop: Header=BB29_6 Depth=1
	global_load_b64 v[20:21], v19, s[14:15] scale_offset
	s_wait_loadcnt 0x0
	ds_store_b64 v18, v[20:21]
	s_branch .LBB29_5
.LBB29_15:
	s_load_b64 s[6:7], s[0:1], 0x50
	s_and_b32 s4, s22, s4
	s_delay_alu instid0(SALU_CYCLE_1) | instskip(NEXT) | instid1(SALU_CYCLE_1)
	s_and_b32 s3, s4, s3
	s_and_b32 exec_lo, exec_lo, s3
	s_cbranch_execz .LBB29_20
; %bb.16:
	s_wait_xcnt 0x0
	s_load_b64 s[0:1], s[0:1], 0x58
	v_cmp_neq_f32_e32 vcc_lo, 0, v4
	s_wait_kmcnt 0x0
	v_mul_u64_e32 v[8:9], s[0:1], v[6:7]
	v_lshl_add_u32 v6, s10, 1, v14
	s_xor_b32 s0, s2, -1
	s_delay_alu instid0(SALU_CYCLE_1) | instskip(NEXT) | instid1(VALU_DEP_1)
	s_or_b32 s0, vcc_lo, s0
	v_ashrrev_i32_e32 v7, 31, v6
	s_delay_alu instid0(VALU_DEP_3) | instskip(SKIP_2) | instid1(SALU_CYCLE_1)
	v_lshl_add_u64 v[10:11], v[8:9], 3, s[6:7]
	v_xor_b32_e32 v8, 0x80000000, v3
	s_and_saveexec_b32 s1, s0
	s_xor_b32 s0, exec_lo, s1
	s_cbranch_execz .LBB29_18
; %bb.17:
	v_lshl_add_u64 v[6:7], v[6:7], 3, v[10:11]
	v_mov_b32_e32 v9, v2
	global_load_b64 v[10:11], v[6:7], off
	v_pk_mul_f32 v[8:9], v[0:1], v[8:9] op_sel:[1,0]
	s_delay_alu instid0(VALU_DEP_1) | instskip(SKIP_3) | instid1(VALU_DEP_3)
	v_pk_fma_f32 v[0:1], v[2:3], v[0:1], v[8:9] op_sel_hi:[1,0,1]
	v_xor_b32_e32 v2, 0x80000000, v5
	v_mov_b32_e32 v3, v4
                                        ; implicit-def: $vgpr8
	s_wait_loadcnt 0x0
	v_pk_fma_f32 v[0:1], v[4:5], v[10:11], v[0:1] op_sel_hi:[1,0,1]
	s_delay_alu instid0(VALU_DEP_1)
	v_pk_fma_f32 v[0:1], v[2:3], v[10:11], v[0:1] op_sel:[0,1,0]
                                        ; implicit-def: $vgpr10_vgpr11
                                        ; implicit-def: $vgpr2_vgpr3
	global_store_b64 v[6:7], v[0:1], off
                                        ; implicit-def: $vgpr6
                                        ; implicit-def: $vgpr0_vgpr1
.LBB29_18:
	s_wait_xcnt 0x0
	s_and_not1_saveexec_b32 s0, s0
	s_cbranch_execz .LBB29_20
; %bb.19:
	v_mov_b32_e32 v9, v2
	v_lshl_add_u64 v[6:7], v[6:7], 3, v[10:11]
	s_delay_alu instid0(VALU_DEP_2) | instskip(NEXT) | instid1(VALU_DEP_1)
	v_pk_mul_f32 v[4:5], v[0:1], v[8:9] op_sel:[1,0]
	v_pk_fma_f32 v[0:1], v[2:3], v[0:1], v[4:5] op_sel_hi:[1,0,1]
	global_store_b64 v[6:7], v[0:1], off
.LBB29_20:
	s_endpgm
	.section	.rodata,"a",@progbits
	.p2align	6, 0x0
	.amdhsa_kernel _ZN9rocsparseL29gebsrmm_small_blockdim_kernelILi2ELi4ELi4ELi16E21rocsparse_complex_numIfEEEv20rocsparse_direction_20rocsparse_operation_iiNS_24const_host_device_scalarIT3_EEPKiS9_PKS6_iiSB_lS7_PS6_l21rocsparse_index_base_b
		.amdhsa_group_segment_fixed_size 640
		.amdhsa_private_segment_fixed_size 0
		.amdhsa_kernarg_size 104
		.amdhsa_user_sgpr_count 2
		.amdhsa_user_sgpr_dispatch_ptr 0
		.amdhsa_user_sgpr_queue_ptr 0
		.amdhsa_user_sgpr_kernarg_segment_ptr 1
		.amdhsa_user_sgpr_dispatch_id 0
		.amdhsa_user_sgpr_kernarg_preload_length 0
		.amdhsa_user_sgpr_kernarg_preload_offset 0
		.amdhsa_user_sgpr_private_segment_size 0
		.amdhsa_wavefront_size32 1
		.amdhsa_uses_dynamic_stack 0
		.amdhsa_enable_private_segment 0
		.amdhsa_system_sgpr_workgroup_id_x 1
		.amdhsa_system_sgpr_workgroup_id_y 1
		.amdhsa_system_sgpr_workgroup_id_z 0
		.amdhsa_system_sgpr_workgroup_info 0
		.amdhsa_system_vgpr_workitem_id 1
		.amdhsa_next_free_vgpr 36
		.amdhsa_next_free_sgpr 26
		.amdhsa_named_barrier_count 0
		.amdhsa_reserve_vcc 1
		.amdhsa_float_round_mode_32 0
		.amdhsa_float_round_mode_16_64 0
		.amdhsa_float_denorm_mode_32 3
		.amdhsa_float_denorm_mode_16_64 3
		.amdhsa_fp16_overflow 0
		.amdhsa_memory_ordered 1
		.amdhsa_forward_progress 1
		.amdhsa_inst_pref_size 10
		.amdhsa_round_robin_scheduling 0
		.amdhsa_exception_fp_ieee_invalid_op 0
		.amdhsa_exception_fp_denorm_src 0
		.amdhsa_exception_fp_ieee_div_zero 0
		.amdhsa_exception_fp_ieee_overflow 0
		.amdhsa_exception_fp_ieee_underflow 0
		.amdhsa_exception_fp_ieee_inexact 0
		.amdhsa_exception_int_div_zero 0
	.end_amdhsa_kernel
	.section	.text._ZN9rocsparseL29gebsrmm_small_blockdim_kernelILi2ELi4ELi4ELi16E21rocsparse_complex_numIfEEEv20rocsparse_direction_20rocsparse_operation_iiNS_24const_host_device_scalarIT3_EEPKiS9_PKS6_iiSB_lS7_PS6_l21rocsparse_index_base_b,"axG",@progbits,_ZN9rocsparseL29gebsrmm_small_blockdim_kernelILi2ELi4ELi4ELi16E21rocsparse_complex_numIfEEEv20rocsparse_direction_20rocsparse_operation_iiNS_24const_host_device_scalarIT3_EEPKiS9_PKS6_iiSB_lS7_PS6_l21rocsparse_index_base_b,comdat
.Lfunc_end29:
	.size	_ZN9rocsparseL29gebsrmm_small_blockdim_kernelILi2ELi4ELi4ELi16E21rocsparse_complex_numIfEEEv20rocsparse_direction_20rocsparse_operation_iiNS_24const_host_device_scalarIT3_EEPKiS9_PKS6_iiSB_lS7_PS6_l21rocsparse_index_base_b, .Lfunc_end29-_ZN9rocsparseL29gebsrmm_small_blockdim_kernelILi2ELi4ELi4ELi16E21rocsparse_complex_numIfEEEv20rocsparse_direction_20rocsparse_operation_iiNS_24const_host_device_scalarIT3_EEPKiS9_PKS6_iiSB_lS7_PS6_l21rocsparse_index_base_b
                                        ; -- End function
	.set _ZN9rocsparseL29gebsrmm_small_blockdim_kernelILi2ELi4ELi4ELi16E21rocsparse_complex_numIfEEEv20rocsparse_direction_20rocsparse_operation_iiNS_24const_host_device_scalarIT3_EEPKiS9_PKS6_iiSB_lS7_PS6_l21rocsparse_index_base_b.num_vgpr, 36
	.set _ZN9rocsparseL29gebsrmm_small_blockdim_kernelILi2ELi4ELi4ELi16E21rocsparse_complex_numIfEEEv20rocsparse_direction_20rocsparse_operation_iiNS_24const_host_device_scalarIT3_EEPKiS9_PKS6_iiSB_lS7_PS6_l21rocsparse_index_base_b.num_agpr, 0
	.set _ZN9rocsparseL29gebsrmm_small_blockdim_kernelILi2ELi4ELi4ELi16E21rocsparse_complex_numIfEEEv20rocsparse_direction_20rocsparse_operation_iiNS_24const_host_device_scalarIT3_EEPKiS9_PKS6_iiSB_lS7_PS6_l21rocsparse_index_base_b.numbered_sgpr, 26
	.set _ZN9rocsparseL29gebsrmm_small_blockdim_kernelILi2ELi4ELi4ELi16E21rocsparse_complex_numIfEEEv20rocsparse_direction_20rocsparse_operation_iiNS_24const_host_device_scalarIT3_EEPKiS9_PKS6_iiSB_lS7_PS6_l21rocsparse_index_base_b.num_named_barrier, 0
	.set _ZN9rocsparseL29gebsrmm_small_blockdim_kernelILi2ELi4ELi4ELi16E21rocsparse_complex_numIfEEEv20rocsparse_direction_20rocsparse_operation_iiNS_24const_host_device_scalarIT3_EEPKiS9_PKS6_iiSB_lS7_PS6_l21rocsparse_index_base_b.private_seg_size, 0
	.set _ZN9rocsparseL29gebsrmm_small_blockdim_kernelILi2ELi4ELi4ELi16E21rocsparse_complex_numIfEEEv20rocsparse_direction_20rocsparse_operation_iiNS_24const_host_device_scalarIT3_EEPKiS9_PKS6_iiSB_lS7_PS6_l21rocsparse_index_base_b.uses_vcc, 1
	.set _ZN9rocsparseL29gebsrmm_small_blockdim_kernelILi2ELi4ELi4ELi16E21rocsparse_complex_numIfEEEv20rocsparse_direction_20rocsparse_operation_iiNS_24const_host_device_scalarIT3_EEPKiS9_PKS6_iiSB_lS7_PS6_l21rocsparse_index_base_b.uses_flat_scratch, 1
	.set _ZN9rocsparseL29gebsrmm_small_blockdim_kernelILi2ELi4ELi4ELi16E21rocsparse_complex_numIfEEEv20rocsparse_direction_20rocsparse_operation_iiNS_24const_host_device_scalarIT3_EEPKiS9_PKS6_iiSB_lS7_PS6_l21rocsparse_index_base_b.has_dyn_sized_stack, 0
	.set _ZN9rocsparseL29gebsrmm_small_blockdim_kernelILi2ELi4ELi4ELi16E21rocsparse_complex_numIfEEEv20rocsparse_direction_20rocsparse_operation_iiNS_24const_host_device_scalarIT3_EEPKiS9_PKS6_iiSB_lS7_PS6_l21rocsparse_index_base_b.has_recursion, 0
	.set _ZN9rocsparseL29gebsrmm_small_blockdim_kernelILi2ELi4ELi4ELi16E21rocsparse_complex_numIfEEEv20rocsparse_direction_20rocsparse_operation_iiNS_24const_host_device_scalarIT3_EEPKiS9_PKS6_iiSB_lS7_PS6_l21rocsparse_index_base_b.has_indirect_call, 0
	.section	.AMDGPU.csdata,"",@progbits
; Kernel info:
; codeLenInByte = 1216
; TotalNumSgprs: 28
; NumVgprs: 36
; ScratchSize: 0
; MemoryBound: 0
; FloatMode: 240
; IeeeMode: 1
; LDSByteSize: 640 bytes/workgroup (compile time only)
; SGPRBlocks: 0
; VGPRBlocks: 2
; NumSGPRsForWavesPerEU: 28
; NumVGPRsForWavesPerEU: 36
; NamedBarCnt: 0
; Occupancy: 16
; WaveLimiterHint : 1
; COMPUTE_PGM_RSRC2:SCRATCH_EN: 0
; COMPUTE_PGM_RSRC2:USER_SGPR: 2
; COMPUTE_PGM_RSRC2:TRAP_HANDLER: 0
; COMPUTE_PGM_RSRC2:TGID_X_EN: 1
; COMPUTE_PGM_RSRC2:TGID_Y_EN: 1
; COMPUTE_PGM_RSRC2:TGID_Z_EN: 0
; COMPUTE_PGM_RSRC2:TIDIG_COMP_CNT: 1
	.section	.text._ZN9rocsparseL29gebsrmm_small_blockdim_kernelILi3ELi1ELi3ELi16E21rocsparse_complex_numIfEEEv20rocsparse_direction_20rocsparse_operation_iiNS_24const_host_device_scalarIT3_EEPKiS9_PKS6_iiSB_lS7_PS6_l21rocsparse_index_base_b,"axG",@progbits,_ZN9rocsparseL29gebsrmm_small_blockdim_kernelILi3ELi1ELi3ELi16E21rocsparse_complex_numIfEEEv20rocsparse_direction_20rocsparse_operation_iiNS_24const_host_device_scalarIT3_EEPKiS9_PKS6_iiSB_lS7_PS6_l21rocsparse_index_base_b,comdat
	.globl	_ZN9rocsparseL29gebsrmm_small_blockdim_kernelILi3ELi1ELi3ELi16E21rocsparse_complex_numIfEEEv20rocsparse_direction_20rocsparse_operation_iiNS_24const_host_device_scalarIT3_EEPKiS9_PKS6_iiSB_lS7_PS6_l21rocsparse_index_base_b ; -- Begin function _ZN9rocsparseL29gebsrmm_small_blockdim_kernelILi3ELi1ELi3ELi16E21rocsparse_complex_numIfEEEv20rocsparse_direction_20rocsparse_operation_iiNS_24const_host_device_scalarIT3_EEPKiS9_PKS6_iiSB_lS7_PS6_l21rocsparse_index_base_b
	.p2align	8
	.type	_ZN9rocsparseL29gebsrmm_small_blockdim_kernelILi3ELi1ELi3ELi16E21rocsparse_complex_numIfEEEv20rocsparse_direction_20rocsparse_operation_iiNS_24const_host_device_scalarIT3_EEPKiS9_PKS6_iiSB_lS7_PS6_l21rocsparse_index_base_b,@function
_ZN9rocsparseL29gebsrmm_small_blockdim_kernelILi3ELi1ELi3ELi16E21rocsparse_complex_numIfEEEv20rocsparse_direction_20rocsparse_operation_iiNS_24const_host_device_scalarIT3_EEPKiS9_PKS6_iiSB_lS7_PS6_l21rocsparse_index_base_b: ; @_ZN9rocsparseL29gebsrmm_small_blockdim_kernelILi3ELi1ELi3ELi16E21rocsparse_complex_numIfEEEv20rocsparse_direction_20rocsparse_operation_iiNS_24const_host_device_scalarIT3_EEPKiS9_PKS6_iiSB_lS7_PS6_l21rocsparse_index_base_b
; %bb.0:
	s_clause 0x2
	s_load_b64 s[6:7], s[0:1], 0x60
	s_load_b64 s[2:3], s[0:1], 0x10
	s_load_b128 s[8:11], s[0:1], 0x40
	v_mov_b32_e32 v1, 0
	s_add_nc_u64 s[4:5], s[0:1], 16
	s_add_nc_u64 s[12:13], s[0:1], 0x48
	s_mov_b32 s20, 0
	s_wait_kmcnt 0x0
	s_bitcmp1_b32 s7, 0
	s_cselect_b32 s3, s5, s3
	s_cselect_b32 s2, s4, s2
	;; [unrolled: 1-line block ×4, first 2 shown]
	s_clause 0x1
	flat_load_b64 v[2:3], v1, s[2:3]
	flat_load_b64 v[4:5], v1, s[4:5]
	s_wait_loadcnt_dscnt 0x101
	v_cmp_eq_f32_e32 vcc_lo, 0, v2
	v_cmp_eq_f32_e64 s3, 0, v3
	s_wait_loadcnt_dscnt 0x0
	v_cmp_eq_f32_e64 s4, 1.0, v4
	v_cmp_eq_f32_e64 s2, 0, v5
	s_and_b32 s3, vcc_lo, s3
	s_and_b32 s4, s4, s2
	s_delay_alu instid0(SALU_CYCLE_1) | instskip(NEXT) | instid1(SALU_CYCLE_1)
	s_and_b32 s3, s3, s4
	s_xor_b32 s3, s3, -1
	s_delay_alu instid0(SALU_CYCLE_1)
	s_and_saveexec_b32 s4, s3
	s_cbranch_execz .LBB30_20
; %bb.1:
	s_load_b96 s[16:18], s[0:1], 0x4
	s_bfe_u32 s3, ttmp6, 0x4000c
	s_and_b32 s4, ttmp6, 15
	s_add_co_i32 s3, s3, 1
	s_mov_b32 s7, 0
	s_mul_i32 s5, ttmp9, s3
	s_getreg_b32 s3, hwreg(HW_REG_IB_STS2, 6, 4)
	s_add_co_i32 s4, s4, s5
	s_cmp_eq_u32 s3, 0
	s_cselect_b32 s10, ttmp9, s4
	s_wait_kmcnt 0x0
	s_cmp_lt_i32 s10, s17
	s_cselect_b32 s19, -1, 0
	s_cmp_ge_i32 s10, s17
	s_cbranch_scc1 .LBB30_3
; %bb.2:
	s_load_b64 s[4:5], s[0:1], 0x18
	s_ashr_i32 s11, s10, 31
	s_delay_alu instid0(SALU_CYCLE_1)
	s_lshl_b64 s[12:13], s[10:11], 2
	s_wait_kmcnt 0x0
	s_add_nc_u64 s[4:5], s[4:5], s[12:13]
	s_load_b64 s[12:13], s[4:5], 0x0
	s_wait_kmcnt 0x0
	s_sub_co_i32 s20, s12, s6
	s_sub_co_i32 s7, s13, s6
.LBB30_3:
	s_bfe_u32 s4, ttmp6, 0x40010
	s_bfe_u32 s5, ttmp6, 0x40004
	s_add_co_i32 s4, s4, 1
	v_bfe_u32 v8, v0, 10, 10
	s_mul_i32 s4, ttmp7, s4
	v_and_b32_e32 v14, 0x3ff, v0
	s_add_co_i32 s5, s5, s4
	s_cmp_eq_u32 s3, 0
	s_cselect_b32 s3, ttmp7, s5
	s_cmp_ge_i32 s20, s7
	v_lshl_add_u32 v6, s3, 4, v8
	v_mov_b32_e32 v1, 0
	v_cmp_gt_u32_e64 s3, 3, v14
	s_delay_alu instid0(VALU_DEP_3) | instskip(SKIP_1) | instid1(VALU_DEP_4)
	v_ashrrev_i32_e32 v7, 31, v6
	v_cmp_gt_i32_e64 s4, s18, v6
	v_mov_b32_e32 v0, v1
	s_cbranch_scc1 .LBB30_15
; %bb.4:
	v_mul_u64_e32 v[12:13], s[8:9], v[6:7]
	s_clause 0x1
	s_load_b64 s[22:23], s[0:1], 0x38
	s_load_b128 s[12:15], s[0:1], 0x20
	v_mul_u32_u24_e32 v1, 3, v8
	v_cmp_ne_u32_e32 vcc_lo, 0, v14
	v_cmp_eq_u32_e64 s5, 0, v8
	s_xor_b32 s11, s4, -1
	v_mad_u32 v16, s20, 3, v14
	v_dual_mov_b32 v0, 0 :: v_dual_lshlrev_b32 v18, 3, v1
	v_add_lshl_u32 v17, v1, v14, 3
	s_or_b32 s11, vcc_lo, s11
	s_and_b32 s5, s3, s5
	s_cmp_lg_u32 s16, 0x6f
	v_mov_b64_e32 v[8:9], 0
	s_cselect_b32 s18, -1, 0
	s_ashr_i32 s21, s20, 31
	v_lshl_add_u32 v15, v14, 3, 0x180
	v_add_nc_u32_e32 v19, 0x180, v17
	v_mov_b32_e32 v1, v0
	s_lshl_b64 s[16:17], s[20:21], 2
	s_wait_kmcnt 0x0
	v_lshl_add_u64 v[10:11], v[6:7], 3, s[22:23]
	s_add_nc_u64 s[12:13], s[12:13], s[16:17]
	v_lshl_add_u64 v[12:13], v[12:13], 3, s[22:23]
	s_branch .LBB30_6
.LBB30_5:                               ;   in Loop: Header=BB30_6 Depth=1
	s_or_b32 exec_lo, exec_lo, s16
	s_wait_dscnt 0x0
	s_barrier_signal -1
	s_barrier_wait -1
	ds_load_b64 v[20:21], v18
	ds_load_b64 v[22:23], v15
	v_add_nc_u32_e32 v16, 3, v16
	s_add_co_i32 s20, s20, 1
	s_add_nc_u64 s[12:13], s[12:13], 4
	s_cmp_ge_i32 s20, s7
	s_wait_dscnt 0x0
	s_barrier_signal -1
	s_barrier_wait -1
	v_pk_fma_f32 v[0:1], v[22:23], v[20:21], v[0:1] op_sel_hi:[1,0,1]
	s_delay_alu instid0(VALU_DEP_1)
	v_pk_fma_f32 v[0:1], v[22:23], v[20:21], v[0:1] op_sel:[1,1,0] op_sel_hi:[0,1,1] neg_lo:[1,0,0]
	s_cbranch_scc1 .LBB30_15
.LBB30_6:                               ; =>This Inner Loop Header: Depth=1
	s_and_saveexec_b32 s16, s11
	s_delay_alu instid0(SALU_CYCLE_1)
	s_xor_b32 s16, exec_lo, s16
; %bb.7:                                ;   in Loop: Header=BB30_6 Depth=1
	ds_store_b64 v17, v[8:9]
; %bb.8:                                ;   in Loop: Header=BB30_6 Depth=1
	s_and_not1_saveexec_b32 s21, s16
	s_cbranch_execz .LBB30_13
; %bb.9:                                ;   in Loop: Header=BB30_6 Depth=1
	s_load_b32 s16, s[12:13], 0x0
	s_mov_b32 s22, -1
	s_and_b32 vcc_lo, exec_lo, s18
	s_wait_kmcnt 0x0
	s_sub_co_i32 s16, s16, s6
	s_delay_alu instid0(SALU_CYCLE_1)
	s_ashr_i32 s17, s16, 31
	s_cbranch_vccz .LBB30_11
; %bb.10:                               ;   in Loop: Header=BB30_6 Depth=1
	s_mul_u64 s[22:23], s[8:9], s[16:17]
	s_delay_alu instid0(SALU_CYCLE_1)
	v_lshl_add_u64 v[20:21], s[22:23], 3, v[10:11]
	s_mov_b32 s22, 0
	global_load_b64 v[20:21], v[20:21], off
	s_wait_loadcnt 0x0
	ds_store_b64 v17, v[20:21]
.LBB30_11:                              ;   in Loop: Header=BB30_6 Depth=1
	s_and_not1_b32 vcc_lo, exec_lo, s22
	s_cbranch_vccnz .LBB30_13
; %bb.12:                               ;   in Loop: Header=BB30_6 Depth=1
	v_lshl_add_u64 v[20:21], s[16:17], 3, v[12:13]
	global_load_b64 v[20:21], v[20:21], off
	s_wait_loadcnt 0x0
	ds_store_b64 v17, v[20:21]
.LBB30_13:                              ;   in Loop: Header=BB30_6 Depth=1
	s_or_b32 exec_lo, exec_lo, s21
	s_and_saveexec_b32 s16, s5
	s_cbranch_execz .LBB30_5
; %bb.14:                               ;   in Loop: Header=BB30_6 Depth=1
	global_load_b64 v[20:21], v16, s[14:15] scale_offset
	s_wait_loadcnt 0x0
	ds_store_b64 v19, v[20:21]
	s_branch .LBB30_5
.LBB30_15:
	s_load_b64 s[6:7], s[0:1], 0x50
	s_and_b32 s4, s19, s4
	s_delay_alu instid0(SALU_CYCLE_1) | instskip(NEXT) | instid1(SALU_CYCLE_1)
	s_and_b32 s3, s4, s3
	s_and_b32 exec_lo, exec_lo, s3
	s_cbranch_execz .LBB30_20
; %bb.16:
	s_wait_xcnt 0x0
	s_load_b64 s[0:1], s[0:1], 0x58
	v_cmp_neq_f32_e32 vcc_lo, 0, v4
	s_wait_kmcnt 0x0
	v_mul_u64_e32 v[8:9], s[0:1], v[6:7]
	v_mad_u32 v6, s10, 3, v14
	s_xor_b32 s0, s2, -1
	s_delay_alu instid0(SALU_CYCLE_1) | instskip(NEXT) | instid1(VALU_DEP_1)
	s_or_b32 s0, vcc_lo, s0
	v_ashrrev_i32_e32 v7, 31, v6
	s_delay_alu instid0(VALU_DEP_3) | instskip(SKIP_2) | instid1(SALU_CYCLE_1)
	v_lshl_add_u64 v[10:11], v[8:9], 3, s[6:7]
	v_xor_b32_e32 v8, 0x80000000, v3
	s_and_saveexec_b32 s1, s0
	s_xor_b32 s0, exec_lo, s1
	s_cbranch_execz .LBB30_18
; %bb.17:
	v_lshl_add_u64 v[6:7], v[6:7], 3, v[10:11]
	v_mov_b32_e32 v9, v2
	global_load_b64 v[10:11], v[6:7], off
	v_pk_mul_f32 v[8:9], v[0:1], v[8:9] op_sel:[1,0]
	s_delay_alu instid0(VALU_DEP_1) | instskip(SKIP_3) | instid1(VALU_DEP_3)
	v_pk_fma_f32 v[0:1], v[2:3], v[0:1], v[8:9] op_sel_hi:[1,0,1]
	v_xor_b32_e32 v2, 0x80000000, v5
	v_mov_b32_e32 v3, v4
                                        ; implicit-def: $vgpr8
	s_wait_loadcnt 0x0
	v_pk_fma_f32 v[0:1], v[4:5], v[10:11], v[0:1] op_sel_hi:[1,0,1]
	s_delay_alu instid0(VALU_DEP_1)
	v_pk_fma_f32 v[0:1], v[2:3], v[10:11], v[0:1] op_sel:[0,1,0]
                                        ; implicit-def: $vgpr10_vgpr11
                                        ; implicit-def: $vgpr2_vgpr3
	global_store_b64 v[6:7], v[0:1], off
                                        ; implicit-def: $vgpr6
                                        ; implicit-def: $vgpr0_vgpr1
.LBB30_18:
	s_wait_xcnt 0x0
	s_and_not1_saveexec_b32 s0, s0
	s_cbranch_execz .LBB30_20
; %bb.19:
	v_mov_b32_e32 v9, v2
	v_lshl_add_u64 v[6:7], v[6:7], 3, v[10:11]
	s_delay_alu instid0(VALU_DEP_2) | instskip(NEXT) | instid1(VALU_DEP_1)
	v_pk_mul_f32 v[4:5], v[0:1], v[8:9] op_sel:[1,0]
	v_pk_fma_f32 v[0:1], v[2:3], v[0:1], v[4:5] op_sel_hi:[1,0,1]
	global_store_b64 v[6:7], v[0:1], off
.LBB30_20:
	s_endpgm
	.section	.rodata,"a",@progbits
	.p2align	6, 0x0
	.amdhsa_kernel _ZN9rocsparseL29gebsrmm_small_blockdim_kernelILi3ELi1ELi3ELi16E21rocsparse_complex_numIfEEEv20rocsparse_direction_20rocsparse_operation_iiNS_24const_host_device_scalarIT3_EEPKiS9_PKS6_iiSB_lS7_PS6_l21rocsparse_index_base_b
		.amdhsa_group_segment_fixed_size 456
		.amdhsa_private_segment_fixed_size 0
		.amdhsa_kernarg_size 104
		.amdhsa_user_sgpr_count 2
		.amdhsa_user_sgpr_dispatch_ptr 0
		.amdhsa_user_sgpr_queue_ptr 0
		.amdhsa_user_sgpr_kernarg_segment_ptr 1
		.amdhsa_user_sgpr_dispatch_id 0
		.amdhsa_user_sgpr_kernarg_preload_length 0
		.amdhsa_user_sgpr_kernarg_preload_offset 0
		.amdhsa_user_sgpr_private_segment_size 0
		.amdhsa_wavefront_size32 1
		.amdhsa_uses_dynamic_stack 0
		.amdhsa_enable_private_segment 0
		.amdhsa_system_sgpr_workgroup_id_x 1
		.amdhsa_system_sgpr_workgroup_id_y 1
		.amdhsa_system_sgpr_workgroup_id_z 0
		.amdhsa_system_sgpr_workgroup_info 0
		.amdhsa_system_vgpr_workitem_id 1
		.amdhsa_next_free_vgpr 24
		.amdhsa_next_free_sgpr 24
		.amdhsa_named_barrier_count 0
		.amdhsa_reserve_vcc 1
		.amdhsa_float_round_mode_32 0
		.amdhsa_float_round_mode_16_64 0
		.amdhsa_float_denorm_mode_32 3
		.amdhsa_float_denorm_mode_16_64 3
		.amdhsa_fp16_overflow 0
		.amdhsa_memory_ordered 1
		.amdhsa_forward_progress 1
		.amdhsa_inst_pref_size 9
		.amdhsa_round_robin_scheduling 0
		.amdhsa_exception_fp_ieee_invalid_op 0
		.amdhsa_exception_fp_denorm_src 0
		.amdhsa_exception_fp_ieee_div_zero 0
		.amdhsa_exception_fp_ieee_overflow 0
		.amdhsa_exception_fp_ieee_underflow 0
		.amdhsa_exception_fp_ieee_inexact 0
		.amdhsa_exception_int_div_zero 0
	.end_amdhsa_kernel
	.section	.text._ZN9rocsparseL29gebsrmm_small_blockdim_kernelILi3ELi1ELi3ELi16E21rocsparse_complex_numIfEEEv20rocsparse_direction_20rocsparse_operation_iiNS_24const_host_device_scalarIT3_EEPKiS9_PKS6_iiSB_lS7_PS6_l21rocsparse_index_base_b,"axG",@progbits,_ZN9rocsparseL29gebsrmm_small_blockdim_kernelILi3ELi1ELi3ELi16E21rocsparse_complex_numIfEEEv20rocsparse_direction_20rocsparse_operation_iiNS_24const_host_device_scalarIT3_EEPKiS9_PKS6_iiSB_lS7_PS6_l21rocsparse_index_base_b,comdat
.Lfunc_end30:
	.size	_ZN9rocsparseL29gebsrmm_small_blockdim_kernelILi3ELi1ELi3ELi16E21rocsparse_complex_numIfEEEv20rocsparse_direction_20rocsparse_operation_iiNS_24const_host_device_scalarIT3_EEPKiS9_PKS6_iiSB_lS7_PS6_l21rocsparse_index_base_b, .Lfunc_end30-_ZN9rocsparseL29gebsrmm_small_blockdim_kernelILi3ELi1ELi3ELi16E21rocsparse_complex_numIfEEEv20rocsparse_direction_20rocsparse_operation_iiNS_24const_host_device_scalarIT3_EEPKiS9_PKS6_iiSB_lS7_PS6_l21rocsparse_index_base_b
                                        ; -- End function
	.set _ZN9rocsparseL29gebsrmm_small_blockdim_kernelILi3ELi1ELi3ELi16E21rocsparse_complex_numIfEEEv20rocsparse_direction_20rocsparse_operation_iiNS_24const_host_device_scalarIT3_EEPKiS9_PKS6_iiSB_lS7_PS6_l21rocsparse_index_base_b.num_vgpr, 24
	.set _ZN9rocsparseL29gebsrmm_small_blockdim_kernelILi3ELi1ELi3ELi16E21rocsparse_complex_numIfEEEv20rocsparse_direction_20rocsparse_operation_iiNS_24const_host_device_scalarIT3_EEPKiS9_PKS6_iiSB_lS7_PS6_l21rocsparse_index_base_b.num_agpr, 0
	.set _ZN9rocsparseL29gebsrmm_small_blockdim_kernelILi3ELi1ELi3ELi16E21rocsparse_complex_numIfEEEv20rocsparse_direction_20rocsparse_operation_iiNS_24const_host_device_scalarIT3_EEPKiS9_PKS6_iiSB_lS7_PS6_l21rocsparse_index_base_b.numbered_sgpr, 24
	.set _ZN9rocsparseL29gebsrmm_small_blockdim_kernelILi3ELi1ELi3ELi16E21rocsparse_complex_numIfEEEv20rocsparse_direction_20rocsparse_operation_iiNS_24const_host_device_scalarIT3_EEPKiS9_PKS6_iiSB_lS7_PS6_l21rocsparse_index_base_b.num_named_barrier, 0
	.set _ZN9rocsparseL29gebsrmm_small_blockdim_kernelILi3ELi1ELi3ELi16E21rocsparse_complex_numIfEEEv20rocsparse_direction_20rocsparse_operation_iiNS_24const_host_device_scalarIT3_EEPKiS9_PKS6_iiSB_lS7_PS6_l21rocsparse_index_base_b.private_seg_size, 0
	.set _ZN9rocsparseL29gebsrmm_small_blockdim_kernelILi3ELi1ELi3ELi16E21rocsparse_complex_numIfEEEv20rocsparse_direction_20rocsparse_operation_iiNS_24const_host_device_scalarIT3_EEPKiS9_PKS6_iiSB_lS7_PS6_l21rocsparse_index_base_b.uses_vcc, 1
	.set _ZN9rocsparseL29gebsrmm_small_blockdim_kernelILi3ELi1ELi3ELi16E21rocsparse_complex_numIfEEEv20rocsparse_direction_20rocsparse_operation_iiNS_24const_host_device_scalarIT3_EEPKiS9_PKS6_iiSB_lS7_PS6_l21rocsparse_index_base_b.uses_flat_scratch, 1
	.set _ZN9rocsparseL29gebsrmm_small_blockdim_kernelILi3ELi1ELi3ELi16E21rocsparse_complex_numIfEEEv20rocsparse_direction_20rocsparse_operation_iiNS_24const_host_device_scalarIT3_EEPKiS9_PKS6_iiSB_lS7_PS6_l21rocsparse_index_base_b.has_dyn_sized_stack, 0
	.set _ZN9rocsparseL29gebsrmm_small_blockdim_kernelILi3ELi1ELi3ELi16E21rocsparse_complex_numIfEEEv20rocsparse_direction_20rocsparse_operation_iiNS_24const_host_device_scalarIT3_EEPKiS9_PKS6_iiSB_lS7_PS6_l21rocsparse_index_base_b.has_recursion, 0
	.set _ZN9rocsparseL29gebsrmm_small_blockdim_kernelILi3ELi1ELi3ELi16E21rocsparse_complex_numIfEEEv20rocsparse_direction_20rocsparse_operation_iiNS_24const_host_device_scalarIT3_EEPKiS9_PKS6_iiSB_lS7_PS6_l21rocsparse_index_base_b.has_indirect_call, 0
	.section	.AMDGPU.csdata,"",@progbits
; Kernel info:
; codeLenInByte = 1072
; TotalNumSgprs: 26
; NumVgprs: 24
; ScratchSize: 0
; MemoryBound: 0
; FloatMode: 240
; IeeeMode: 1
; LDSByteSize: 456 bytes/workgroup (compile time only)
; SGPRBlocks: 0
; VGPRBlocks: 1
; NumSGPRsForWavesPerEU: 26
; NumVGPRsForWavesPerEU: 24
; NamedBarCnt: 0
; Occupancy: 16
; WaveLimiterHint : 1
; COMPUTE_PGM_RSRC2:SCRATCH_EN: 0
; COMPUTE_PGM_RSRC2:USER_SGPR: 2
; COMPUTE_PGM_RSRC2:TRAP_HANDLER: 0
; COMPUTE_PGM_RSRC2:TGID_X_EN: 1
; COMPUTE_PGM_RSRC2:TGID_Y_EN: 1
; COMPUTE_PGM_RSRC2:TGID_Z_EN: 0
; COMPUTE_PGM_RSRC2:TIDIG_COMP_CNT: 1
	.section	.text._ZN9rocsparseL29gebsrmm_small_blockdim_kernelILi3ELi2ELi3ELi16E21rocsparse_complex_numIfEEEv20rocsparse_direction_20rocsparse_operation_iiNS_24const_host_device_scalarIT3_EEPKiS9_PKS6_iiSB_lS7_PS6_l21rocsparse_index_base_b,"axG",@progbits,_ZN9rocsparseL29gebsrmm_small_blockdim_kernelILi3ELi2ELi3ELi16E21rocsparse_complex_numIfEEEv20rocsparse_direction_20rocsparse_operation_iiNS_24const_host_device_scalarIT3_EEPKiS9_PKS6_iiSB_lS7_PS6_l21rocsparse_index_base_b,comdat
	.globl	_ZN9rocsparseL29gebsrmm_small_blockdim_kernelILi3ELi2ELi3ELi16E21rocsparse_complex_numIfEEEv20rocsparse_direction_20rocsparse_operation_iiNS_24const_host_device_scalarIT3_EEPKiS9_PKS6_iiSB_lS7_PS6_l21rocsparse_index_base_b ; -- Begin function _ZN9rocsparseL29gebsrmm_small_blockdim_kernelILi3ELi2ELi3ELi16E21rocsparse_complex_numIfEEEv20rocsparse_direction_20rocsparse_operation_iiNS_24const_host_device_scalarIT3_EEPKiS9_PKS6_iiSB_lS7_PS6_l21rocsparse_index_base_b
	.p2align	8
	.type	_ZN9rocsparseL29gebsrmm_small_blockdim_kernelILi3ELi2ELi3ELi16E21rocsparse_complex_numIfEEEv20rocsparse_direction_20rocsparse_operation_iiNS_24const_host_device_scalarIT3_EEPKiS9_PKS6_iiSB_lS7_PS6_l21rocsparse_index_base_b,@function
_ZN9rocsparseL29gebsrmm_small_blockdim_kernelILi3ELi2ELi3ELi16E21rocsparse_complex_numIfEEEv20rocsparse_direction_20rocsparse_operation_iiNS_24const_host_device_scalarIT3_EEPKiS9_PKS6_iiSB_lS7_PS6_l21rocsparse_index_base_b: ; @_ZN9rocsparseL29gebsrmm_small_blockdim_kernelILi3ELi2ELi3ELi16E21rocsparse_complex_numIfEEEv20rocsparse_direction_20rocsparse_operation_iiNS_24const_host_device_scalarIT3_EEPKiS9_PKS6_iiSB_lS7_PS6_l21rocsparse_index_base_b
; %bb.0:
	s_clause 0x2
	s_load_b64 s[6:7], s[0:1], 0x60
	s_load_b64 s[2:3], s[0:1], 0x10
	s_load_b128 s[8:11], s[0:1], 0x40
	v_mov_b32_e32 v1, 0
	s_add_nc_u64 s[4:5], s[0:1], 16
	s_add_nc_u64 s[12:13], s[0:1], 0x48
	s_mov_b32 s20, 0
	s_wait_kmcnt 0x0
	s_bitcmp1_b32 s7, 0
	s_cselect_b32 s3, s5, s3
	s_cselect_b32 s2, s4, s2
	;; [unrolled: 1-line block ×4, first 2 shown]
	s_clause 0x1
	flat_load_b64 v[2:3], v1, s[2:3]
	flat_load_b64 v[4:5], v1, s[4:5]
	s_wait_loadcnt_dscnt 0x101
	v_cmp_eq_f32_e32 vcc_lo, 0, v2
	v_cmp_eq_f32_e64 s3, 0, v3
	s_wait_loadcnt_dscnt 0x0
	v_cmp_eq_f32_e64 s4, 1.0, v4
	v_cmp_eq_f32_e64 s2, 0, v5
	s_and_b32 s3, vcc_lo, s3
	s_and_b32 s4, s4, s2
	s_delay_alu instid0(SALU_CYCLE_1) | instskip(NEXT) | instid1(SALU_CYCLE_1)
	s_and_b32 s3, s3, s4
	s_xor_b32 s3, s3, -1
	s_delay_alu instid0(SALU_CYCLE_1)
	s_and_saveexec_b32 s4, s3
	s_cbranch_execz .LBB31_20
; %bb.1:
	s_load_b128 s[16:19], s[0:1], 0x0
	s_bfe_u32 s3, ttmp6, 0x4000c
	s_and_b32 s4, ttmp6, 15
	s_add_co_i32 s3, s3, 1
	s_mov_b32 s7, 0
	s_mul_i32 s5, ttmp9, s3
	s_getreg_b32 s3, hwreg(HW_REG_IB_STS2, 6, 4)
	s_add_co_i32 s4, s4, s5
	s_cmp_eq_u32 s3, 0
	s_cselect_b32 s10, ttmp9, s4
	s_wait_kmcnt 0x0
	s_cmp_lt_i32 s10, s18
	s_cselect_b32 s22, -1, 0
	s_cmp_ge_i32 s10, s18
	s_cbranch_scc1 .LBB31_3
; %bb.2:
	s_load_b64 s[4:5], s[0:1], 0x18
	s_ashr_i32 s11, s10, 31
	s_delay_alu instid0(SALU_CYCLE_1)
	s_lshl_b64 s[12:13], s[10:11], 2
	s_wait_kmcnt 0x0
	s_add_nc_u64 s[4:5], s[4:5], s[12:13]
	s_load_b64 s[12:13], s[4:5], 0x0
	s_wait_kmcnt 0x0
	s_sub_co_i32 s20, s12, s6
	s_sub_co_i32 s7, s13, s6
.LBB31_3:
	s_bfe_u32 s4, ttmp6, 0x40010
	s_bfe_u32 s5, ttmp6, 0x40004
	s_add_co_i32 s4, s4, 1
	v_bfe_u32 v8, v0, 10, 10
	s_mul_i32 s4, ttmp7, s4
	v_and_b32_e32 v14, 0x3ff, v0
	s_add_co_i32 s5, s5, s4
	s_cmp_eq_u32 s3, 0
	s_cselect_b32 s3, ttmp7, s5
	s_cmp_ge_i32 s20, s7
	v_lshl_add_u32 v6, s3, 4, v8
	v_mov_b32_e32 v1, 0
	v_cmp_gt_u32_e64 s3, 3, v14
	s_delay_alu instid0(VALU_DEP_3) | instskip(SKIP_1) | instid1(VALU_DEP_4)
	v_ashrrev_i32_e32 v7, 31, v6
	v_cmp_gt_i32_e64 s4, s19, v6
	v_mov_b32_e32 v0, v1
	s_cbranch_scc1 .LBB31_15
; %bb.4:
	v_mul_u64_e32 v[10:11], s[8:9], v[6:7]
	s_clause 0x1
	s_load_b64 s[24:25], s[0:1], 0x38
	s_load_b128 s[12:15], s[0:1], 0x20
	v_cmp_lt_u32_e32 vcc_lo, 1, v14
	v_cmp_gt_u32_e64 s5, 2, v8
	s_xor_b32 s11, s4, -1
	v_mul_u32_u24_e32 v9, 3, v8
	v_mad_u32_u24 v12, v8, 3, v14
	s_or_b32 s11, s11, vcc_lo
	s_and_b32 s5, s3, s5
	s_cmp_lg_u32 s17, 0x6f
	v_lshl_add_u32 v8, v14, 1, v8
	s_cselect_b32 s18, -1, 0
	s_cmp_eq_u32 s16, 0
	v_dual_mov_b32 v1, 0 :: v_dual_lshlrev_b32 v0, 3, v14
	s_cselect_b32 vcc_lo, -1, 0
	v_dual_cndmask_b32 v8, v12, v8 :: v_dual_lshlrev_b32 v17, 3, v9
	v_lshlrev_b32_e32 v15, 3, v12
	v_mov_b64_e32 v[12:13], 0
	s_ashr_i32 s21, s20, 31
	v_add_nc_u32_e32 v16, 0x180, v0
	v_mad_u32 v18, s20, 6, v8
	s_wait_kmcnt 0x0
	v_lshl_add_u64 v[8:9], v[6:7], 3, s[24:25]
	s_lshl_b64 s[16:17], s[20:21], 2
	s_delay_alu instid0(SALU_CYCLE_1) | instskip(SKIP_1) | instid1(VALU_DEP_1)
	s_add_nc_u64 s[12:13], s[12:13], s[16:17]
	v_lshl_add_u64 v[10:11], v[10:11], 3, s[24:25]
	v_add_nc_u64_e32 v[10:11], v[10:11], v[0:1]
	v_dual_mov_b32 v0, v1 :: v_dual_add_nc_u32 v19, 0x180, v15
	s_branch .LBB31_6
.LBB31_5:                               ;   in Loop: Header=BB31_6 Depth=1
	s_or_b32 exec_lo, exec_lo, s16
	s_wait_dscnt 0x0
	s_barrier_signal -1
	s_barrier_wait -1
	ds_load_2addr_b64 v[20:23], v17 offset1:1
	ds_load_2addr_b64 v[24:27], v16 offset1:3
	s_add_co_i32 s20, s20, 1
	s_add_nc_u64 s[12:13], s[12:13], 4
	s_cmp_ge_i32 s20, s7
	s_wait_dscnt 0x0
	s_barrier_signal -1
	s_barrier_wait -1
	v_add_nc_u32_e32 v18, 6, v18
	v_pk_fma_f32 v[0:1], v[24:25], v[20:21], v[0:1] op_sel_hi:[1,0,1]
	s_delay_alu instid0(VALU_DEP_1) | instskip(SKIP_1) | instid1(VALU_DEP_2)
	v_pk_fma_f32 v[0:1], v[24:25], v[20:21], v[0:1] op_sel:[1,1,0] op_sel_hi:[0,1,1] neg_lo:[1,0,0]
	v_mov_b32_e32 v20, v23
	v_pk_fma_f32 v[0:1], v[26:27], v[22:23], v[0:1] op_sel_hi:[1,0,1]
	s_delay_alu instid0(VALU_DEP_1)
	v_pk_fma_f32 v[0:1], v[26:27], v[20:21], v[0:1] op_sel:[1,0,0] op_sel_hi:[0,0,1] neg_lo:[1,0,0]
	s_cbranch_scc1 .LBB31_15
.LBB31_6:                               ; =>This Inner Loop Header: Depth=1
	s_and_saveexec_b32 s16, s11
	s_delay_alu instid0(SALU_CYCLE_1)
	s_xor_b32 s16, exec_lo, s16
; %bb.7:                                ;   in Loop: Header=BB31_6 Depth=1
	ds_store_b64 v15, v[12:13]
; %bb.8:                                ;   in Loop: Header=BB31_6 Depth=1
	s_and_not1_saveexec_b32 s19, s16
	s_cbranch_execz .LBB31_13
; %bb.9:                                ;   in Loop: Header=BB31_6 Depth=1
	s_load_b32 s16, s[12:13], 0x0
	s_mov_b32 s17, -1
	s_and_b32 vcc_lo, exec_lo, s18
	s_wait_kmcnt 0x0
	s_sub_co_i32 s16, s16, s6
	s_delay_alu instid0(SALU_CYCLE_1)
	s_lshl_b32 s16, s16, 1
	s_cbranch_vccz .LBB31_11
; %bb.10:                               ;   in Loop: Header=BB31_6 Depth=1
	v_or_b32_e32 v20, s16, v14
	s_mov_b32 s17, 0
	s_delay_alu instid0(VALU_DEP_1) | instskip(NEXT) | instid1(VALU_DEP_1)
	v_ashrrev_i32_e32 v21, 31, v20
	v_mul_u64_e32 v[20:21], s[8:9], v[20:21]
	s_delay_alu instid0(VALU_DEP_1)
	v_lshl_add_u64 v[20:21], v[20:21], 3, v[8:9]
	global_load_b64 v[20:21], v[20:21], off
	s_wait_loadcnt 0x0
	ds_store_b64 v15, v[20:21]
.LBB31_11:                              ;   in Loop: Header=BB31_6 Depth=1
	s_and_not1_b32 vcc_lo, exec_lo, s17
	s_cbranch_vccnz .LBB31_13
; %bb.12:                               ;   in Loop: Header=BB31_6 Depth=1
	s_ashr_i32 s17, s16, 31
	s_delay_alu instid0(SALU_CYCLE_1)
	v_lshl_add_u64 v[20:21], s[16:17], 3, v[10:11]
	global_load_b64 v[20:21], v[20:21], off
	s_wait_loadcnt 0x0
	ds_store_b64 v15, v[20:21]
.LBB31_13:                              ;   in Loop: Header=BB31_6 Depth=1
	s_or_b32 exec_lo, exec_lo, s19
	s_and_saveexec_b32 s16, s5
	s_cbranch_execz .LBB31_5
; %bb.14:                               ;   in Loop: Header=BB31_6 Depth=1
	global_load_b64 v[20:21], v18, s[14:15] scale_offset
	s_wait_loadcnt 0x0
	ds_store_b64 v19, v[20:21]
	s_branch .LBB31_5
.LBB31_15:
	s_load_b64 s[6:7], s[0:1], 0x50
	s_and_b32 s4, s22, s4
	s_delay_alu instid0(SALU_CYCLE_1) | instskip(NEXT) | instid1(SALU_CYCLE_1)
	s_and_b32 s3, s4, s3
	s_and_b32 exec_lo, exec_lo, s3
	s_cbranch_execz .LBB31_20
; %bb.16:
	s_wait_xcnt 0x0
	s_load_b64 s[0:1], s[0:1], 0x58
	v_cmp_neq_f32_e32 vcc_lo, 0, v4
	s_wait_kmcnt 0x0
	v_mul_u64_e32 v[8:9], s[0:1], v[6:7]
	v_mad_u32 v6, s10, 3, v14
	s_xor_b32 s0, s2, -1
	s_delay_alu instid0(SALU_CYCLE_1) | instskip(NEXT) | instid1(VALU_DEP_1)
	s_or_b32 s0, vcc_lo, s0
	v_ashrrev_i32_e32 v7, 31, v6
	s_delay_alu instid0(VALU_DEP_3) | instskip(SKIP_2) | instid1(SALU_CYCLE_1)
	v_lshl_add_u64 v[10:11], v[8:9], 3, s[6:7]
	v_xor_b32_e32 v8, 0x80000000, v3
	s_and_saveexec_b32 s1, s0
	s_xor_b32 s0, exec_lo, s1
	s_cbranch_execz .LBB31_18
; %bb.17:
	v_lshl_add_u64 v[6:7], v[6:7], 3, v[10:11]
	v_mov_b32_e32 v9, v2
	global_load_b64 v[10:11], v[6:7], off
	v_pk_mul_f32 v[8:9], v[0:1], v[8:9] op_sel:[1,0]
	s_delay_alu instid0(VALU_DEP_1) | instskip(SKIP_3) | instid1(VALU_DEP_3)
	v_pk_fma_f32 v[0:1], v[2:3], v[0:1], v[8:9] op_sel_hi:[1,0,1]
	v_xor_b32_e32 v2, 0x80000000, v5
	v_mov_b32_e32 v3, v4
                                        ; implicit-def: $vgpr8
	s_wait_loadcnt 0x0
	v_pk_fma_f32 v[0:1], v[4:5], v[10:11], v[0:1] op_sel_hi:[1,0,1]
	s_delay_alu instid0(VALU_DEP_1)
	v_pk_fma_f32 v[0:1], v[2:3], v[10:11], v[0:1] op_sel:[0,1,0]
                                        ; implicit-def: $vgpr10_vgpr11
                                        ; implicit-def: $vgpr2_vgpr3
	global_store_b64 v[6:7], v[0:1], off
                                        ; implicit-def: $vgpr6
                                        ; implicit-def: $vgpr0_vgpr1
.LBB31_18:
	s_wait_xcnt 0x0
	s_and_not1_saveexec_b32 s0, s0
	s_cbranch_execz .LBB31_20
; %bb.19:
	v_mov_b32_e32 v9, v2
	v_lshl_add_u64 v[6:7], v[6:7], 3, v[10:11]
	s_delay_alu instid0(VALU_DEP_2) | instskip(NEXT) | instid1(VALU_DEP_1)
	v_pk_mul_f32 v[4:5], v[0:1], v[8:9] op_sel:[1,0]
	v_pk_fma_f32 v[0:1], v[2:3], v[0:1], v[4:5] op_sel_hi:[1,0,1]
	global_store_b64 v[6:7], v[0:1], off
.LBB31_20:
	s_endpgm
	.section	.rodata,"a",@progbits
	.p2align	6, 0x0
	.amdhsa_kernel _ZN9rocsparseL29gebsrmm_small_blockdim_kernelILi3ELi2ELi3ELi16E21rocsparse_complex_numIfEEEv20rocsparse_direction_20rocsparse_operation_iiNS_24const_host_device_scalarIT3_EEPKiS9_PKS6_iiSB_lS7_PS6_l21rocsparse_index_base_b
		.amdhsa_group_segment_fixed_size 456
		.amdhsa_private_segment_fixed_size 0
		.amdhsa_kernarg_size 104
		.amdhsa_user_sgpr_count 2
		.amdhsa_user_sgpr_dispatch_ptr 0
		.amdhsa_user_sgpr_queue_ptr 0
		.amdhsa_user_sgpr_kernarg_segment_ptr 1
		.amdhsa_user_sgpr_dispatch_id 0
		.amdhsa_user_sgpr_kernarg_preload_length 0
		.amdhsa_user_sgpr_kernarg_preload_offset 0
		.amdhsa_user_sgpr_private_segment_size 0
		.amdhsa_wavefront_size32 1
		.amdhsa_uses_dynamic_stack 0
		.amdhsa_enable_private_segment 0
		.amdhsa_system_sgpr_workgroup_id_x 1
		.amdhsa_system_sgpr_workgroup_id_y 1
		.amdhsa_system_sgpr_workgroup_id_z 0
		.amdhsa_system_sgpr_workgroup_info 0
		.amdhsa_system_vgpr_workitem_id 1
		.amdhsa_next_free_vgpr 28
		.amdhsa_next_free_sgpr 26
		.amdhsa_named_barrier_count 0
		.amdhsa_reserve_vcc 1
		.amdhsa_float_round_mode_32 0
		.amdhsa_float_round_mode_16_64 0
		.amdhsa_float_denorm_mode_32 3
		.amdhsa_float_denorm_mode_16_64 3
		.amdhsa_fp16_overflow 0
		.amdhsa_memory_ordered 1
		.amdhsa_forward_progress 1
		.amdhsa_inst_pref_size 9
		.amdhsa_round_robin_scheduling 0
		.amdhsa_exception_fp_ieee_invalid_op 0
		.amdhsa_exception_fp_denorm_src 0
		.amdhsa_exception_fp_ieee_div_zero 0
		.amdhsa_exception_fp_ieee_overflow 0
		.amdhsa_exception_fp_ieee_underflow 0
		.amdhsa_exception_fp_ieee_inexact 0
		.amdhsa_exception_int_div_zero 0
	.end_amdhsa_kernel
	.section	.text._ZN9rocsparseL29gebsrmm_small_blockdim_kernelILi3ELi2ELi3ELi16E21rocsparse_complex_numIfEEEv20rocsparse_direction_20rocsparse_operation_iiNS_24const_host_device_scalarIT3_EEPKiS9_PKS6_iiSB_lS7_PS6_l21rocsparse_index_base_b,"axG",@progbits,_ZN9rocsparseL29gebsrmm_small_blockdim_kernelILi3ELi2ELi3ELi16E21rocsparse_complex_numIfEEEv20rocsparse_direction_20rocsparse_operation_iiNS_24const_host_device_scalarIT3_EEPKiS9_PKS6_iiSB_lS7_PS6_l21rocsparse_index_base_b,comdat
.Lfunc_end31:
	.size	_ZN9rocsparseL29gebsrmm_small_blockdim_kernelILi3ELi2ELi3ELi16E21rocsparse_complex_numIfEEEv20rocsparse_direction_20rocsparse_operation_iiNS_24const_host_device_scalarIT3_EEPKiS9_PKS6_iiSB_lS7_PS6_l21rocsparse_index_base_b, .Lfunc_end31-_ZN9rocsparseL29gebsrmm_small_blockdim_kernelILi3ELi2ELi3ELi16E21rocsparse_complex_numIfEEEv20rocsparse_direction_20rocsparse_operation_iiNS_24const_host_device_scalarIT3_EEPKiS9_PKS6_iiSB_lS7_PS6_l21rocsparse_index_base_b
                                        ; -- End function
	.set _ZN9rocsparseL29gebsrmm_small_blockdim_kernelILi3ELi2ELi3ELi16E21rocsparse_complex_numIfEEEv20rocsparse_direction_20rocsparse_operation_iiNS_24const_host_device_scalarIT3_EEPKiS9_PKS6_iiSB_lS7_PS6_l21rocsparse_index_base_b.num_vgpr, 28
	.set _ZN9rocsparseL29gebsrmm_small_blockdim_kernelILi3ELi2ELi3ELi16E21rocsparse_complex_numIfEEEv20rocsparse_direction_20rocsparse_operation_iiNS_24const_host_device_scalarIT3_EEPKiS9_PKS6_iiSB_lS7_PS6_l21rocsparse_index_base_b.num_agpr, 0
	.set _ZN9rocsparseL29gebsrmm_small_blockdim_kernelILi3ELi2ELi3ELi16E21rocsparse_complex_numIfEEEv20rocsparse_direction_20rocsparse_operation_iiNS_24const_host_device_scalarIT3_EEPKiS9_PKS6_iiSB_lS7_PS6_l21rocsparse_index_base_b.numbered_sgpr, 26
	.set _ZN9rocsparseL29gebsrmm_small_blockdim_kernelILi3ELi2ELi3ELi16E21rocsparse_complex_numIfEEEv20rocsparse_direction_20rocsparse_operation_iiNS_24const_host_device_scalarIT3_EEPKiS9_PKS6_iiSB_lS7_PS6_l21rocsparse_index_base_b.num_named_barrier, 0
	.set _ZN9rocsparseL29gebsrmm_small_blockdim_kernelILi3ELi2ELi3ELi16E21rocsparse_complex_numIfEEEv20rocsparse_direction_20rocsparse_operation_iiNS_24const_host_device_scalarIT3_EEPKiS9_PKS6_iiSB_lS7_PS6_l21rocsparse_index_base_b.private_seg_size, 0
	.set _ZN9rocsparseL29gebsrmm_small_blockdim_kernelILi3ELi2ELi3ELi16E21rocsparse_complex_numIfEEEv20rocsparse_direction_20rocsparse_operation_iiNS_24const_host_device_scalarIT3_EEPKiS9_PKS6_iiSB_lS7_PS6_l21rocsparse_index_base_b.uses_vcc, 1
	.set _ZN9rocsparseL29gebsrmm_small_blockdim_kernelILi3ELi2ELi3ELi16E21rocsparse_complex_numIfEEEv20rocsparse_direction_20rocsparse_operation_iiNS_24const_host_device_scalarIT3_EEPKiS9_PKS6_iiSB_lS7_PS6_l21rocsparse_index_base_b.uses_flat_scratch, 1
	.set _ZN9rocsparseL29gebsrmm_small_blockdim_kernelILi3ELi2ELi3ELi16E21rocsparse_complex_numIfEEEv20rocsparse_direction_20rocsparse_operation_iiNS_24const_host_device_scalarIT3_EEPKiS9_PKS6_iiSB_lS7_PS6_l21rocsparse_index_base_b.has_dyn_sized_stack, 0
	.set _ZN9rocsparseL29gebsrmm_small_blockdim_kernelILi3ELi2ELi3ELi16E21rocsparse_complex_numIfEEEv20rocsparse_direction_20rocsparse_operation_iiNS_24const_host_device_scalarIT3_EEPKiS9_PKS6_iiSB_lS7_PS6_l21rocsparse_index_base_b.has_recursion, 0
	.set _ZN9rocsparseL29gebsrmm_small_blockdim_kernelILi3ELi2ELi3ELi16E21rocsparse_complex_numIfEEEv20rocsparse_direction_20rocsparse_operation_iiNS_24const_host_device_scalarIT3_EEPKiS9_PKS6_iiSB_lS7_PS6_l21rocsparse_index_base_b.has_indirect_call, 0
	.section	.AMDGPU.csdata,"",@progbits
; Kernel info:
; codeLenInByte = 1144
; TotalNumSgprs: 28
; NumVgprs: 28
; ScratchSize: 0
; MemoryBound: 0
; FloatMode: 240
; IeeeMode: 1
; LDSByteSize: 456 bytes/workgroup (compile time only)
; SGPRBlocks: 0
; VGPRBlocks: 1
; NumSGPRsForWavesPerEU: 28
; NumVGPRsForWavesPerEU: 28
; NamedBarCnt: 0
; Occupancy: 16
; WaveLimiterHint : 1
; COMPUTE_PGM_RSRC2:SCRATCH_EN: 0
; COMPUTE_PGM_RSRC2:USER_SGPR: 2
; COMPUTE_PGM_RSRC2:TRAP_HANDLER: 0
; COMPUTE_PGM_RSRC2:TGID_X_EN: 1
; COMPUTE_PGM_RSRC2:TGID_Y_EN: 1
; COMPUTE_PGM_RSRC2:TGID_Z_EN: 0
; COMPUTE_PGM_RSRC2:TIDIG_COMP_CNT: 1
	.section	.text._ZN9rocsparseL29gebsrmm_small_blockdim_kernelILi3ELi4ELi4ELi16E21rocsparse_complex_numIfEEEv20rocsparse_direction_20rocsparse_operation_iiNS_24const_host_device_scalarIT3_EEPKiS9_PKS6_iiSB_lS7_PS6_l21rocsparse_index_base_b,"axG",@progbits,_ZN9rocsparseL29gebsrmm_small_blockdim_kernelILi3ELi4ELi4ELi16E21rocsparse_complex_numIfEEEv20rocsparse_direction_20rocsparse_operation_iiNS_24const_host_device_scalarIT3_EEPKiS9_PKS6_iiSB_lS7_PS6_l21rocsparse_index_base_b,comdat
	.globl	_ZN9rocsparseL29gebsrmm_small_blockdim_kernelILi3ELi4ELi4ELi16E21rocsparse_complex_numIfEEEv20rocsparse_direction_20rocsparse_operation_iiNS_24const_host_device_scalarIT3_EEPKiS9_PKS6_iiSB_lS7_PS6_l21rocsparse_index_base_b ; -- Begin function _ZN9rocsparseL29gebsrmm_small_blockdim_kernelILi3ELi4ELi4ELi16E21rocsparse_complex_numIfEEEv20rocsparse_direction_20rocsparse_operation_iiNS_24const_host_device_scalarIT3_EEPKiS9_PKS6_iiSB_lS7_PS6_l21rocsparse_index_base_b
	.p2align	8
	.type	_ZN9rocsparseL29gebsrmm_small_blockdim_kernelILi3ELi4ELi4ELi16E21rocsparse_complex_numIfEEEv20rocsparse_direction_20rocsparse_operation_iiNS_24const_host_device_scalarIT3_EEPKiS9_PKS6_iiSB_lS7_PS6_l21rocsparse_index_base_b,@function
_ZN9rocsparseL29gebsrmm_small_blockdim_kernelILi3ELi4ELi4ELi16E21rocsparse_complex_numIfEEEv20rocsparse_direction_20rocsparse_operation_iiNS_24const_host_device_scalarIT3_EEPKiS9_PKS6_iiSB_lS7_PS6_l21rocsparse_index_base_b: ; @_ZN9rocsparseL29gebsrmm_small_blockdim_kernelILi3ELi4ELi4ELi16E21rocsparse_complex_numIfEEEv20rocsparse_direction_20rocsparse_operation_iiNS_24const_host_device_scalarIT3_EEPKiS9_PKS6_iiSB_lS7_PS6_l21rocsparse_index_base_b
; %bb.0:
	s_clause 0x2
	s_load_b64 s[6:7], s[0:1], 0x60
	s_load_b64 s[2:3], s[0:1], 0x10
	s_load_b128 s[8:11], s[0:1], 0x40
	v_mov_b32_e32 v1, 0
	s_add_nc_u64 s[4:5], s[0:1], 16
	s_add_nc_u64 s[12:13], s[0:1], 0x48
	s_mov_b32 s20, 0
	s_wait_kmcnt 0x0
	s_bitcmp1_b32 s7, 0
	s_cselect_b32 s3, s5, s3
	s_cselect_b32 s2, s4, s2
	;; [unrolled: 1-line block ×4, first 2 shown]
	s_clause 0x1
	flat_load_b64 v[2:3], v1, s[2:3]
	flat_load_b64 v[4:5], v1, s[4:5]
	s_wait_loadcnt_dscnt 0x101
	v_cmp_eq_f32_e32 vcc_lo, 0, v2
	v_cmp_eq_f32_e64 s3, 0, v3
	s_wait_loadcnt_dscnt 0x0
	v_cmp_eq_f32_e64 s4, 1.0, v4
	v_cmp_eq_f32_e64 s2, 0, v5
	s_and_b32 s3, vcc_lo, s3
	s_and_b32 s4, s4, s2
	s_delay_alu instid0(SALU_CYCLE_1) | instskip(NEXT) | instid1(SALU_CYCLE_1)
	s_and_b32 s3, s3, s4
	s_xor_b32 s3, s3, -1
	s_delay_alu instid0(SALU_CYCLE_1)
	s_and_saveexec_b32 s4, s3
	s_cbranch_execz .LBB32_20
; %bb.1:
	s_load_b128 s[16:19], s[0:1], 0x0
	s_bfe_u32 s3, ttmp6, 0x4000c
	s_and_b32 s4, ttmp6, 15
	s_add_co_i32 s3, s3, 1
	s_mov_b32 s7, 0
	s_mul_i32 s5, ttmp9, s3
	s_getreg_b32 s3, hwreg(HW_REG_IB_STS2, 6, 4)
	s_add_co_i32 s4, s4, s5
	s_cmp_eq_u32 s3, 0
	s_cselect_b32 s10, ttmp9, s4
	s_wait_kmcnt 0x0
	s_cmp_lt_i32 s10, s18
	s_cselect_b32 s22, -1, 0
	s_cmp_ge_i32 s10, s18
	s_cbranch_scc1 .LBB32_3
; %bb.2:
	s_load_b64 s[4:5], s[0:1], 0x18
	s_ashr_i32 s11, s10, 31
	s_delay_alu instid0(SALU_CYCLE_1)
	s_lshl_b64 s[12:13], s[10:11], 2
	s_wait_kmcnt 0x0
	s_add_nc_u64 s[4:5], s[4:5], s[12:13]
	s_load_b64 s[12:13], s[4:5], 0x0
	s_wait_kmcnt 0x0
	s_sub_co_i32 s20, s12, s6
	s_sub_co_i32 s7, s13, s6
.LBB32_3:
	s_bfe_u32 s4, ttmp6, 0x40010
	s_bfe_u32 s5, ttmp6, 0x40004
	s_add_co_i32 s4, s4, 1
	v_bfe_u32 v8, v0, 10, 10
	s_mul_i32 s4, ttmp7, s4
	v_and_b32_e32 v14, 0x3ff, v0
	s_add_co_i32 s5, s5, s4
	s_cmp_eq_u32 s3, 0
	s_cselect_b32 s3, ttmp7, s5
	s_cmp_ge_i32 s20, s7
	v_lshl_add_u32 v6, s3, 4, v8
	v_mov_b32_e32 v1, 0
	v_cmp_gt_u32_e64 s3, 3, v14
	s_delay_alu instid0(VALU_DEP_3) | instskip(SKIP_1) | instid1(VALU_DEP_4)
	v_ashrrev_i32_e32 v7, 31, v6
	v_cmp_gt_i32_e64 s4, s19, v6
	v_mov_b32_e32 v0, v1
	s_cbranch_scc1 .LBB32_15
; %bb.4:
	v_mul_u64_e32 v[10:11], s[8:9], v[6:7]
	s_clause 0x1
	s_load_b64 s[24:25], s[0:1], 0x38
	s_load_b128 s[12:15], s[0:1], 0x20
	v_cmp_lt_u32_e32 vcc_lo, 3, v14
	v_cmp_gt_u32_e64 s5, 4, v8
	v_lshl_add_u32 v9, v8, 2, v14
	s_xor_b32 s11, s4, -1
	v_lshlrev_b32_e32 v0, 3, v14
	s_or_b32 s11, s11, vcc_lo
	s_and_b32 s5, s3, s5
	s_cmp_lg_u32 s17, 0x6f
	v_lshl_add_u32 v12, v14, 2, v8
	v_sub_nc_u32_e32 v13, v9, v8
	s_cselect_b32 s18, -1, 0
	s_cmp_eq_u32 s16, 0
	v_dual_lshlrev_b32 v15, 3, v9 :: v_dual_lshlrev_b32 v16, 5, v8
	s_cselect_b32 vcc_lo, -1, 0
	v_dual_mov_b32 v1, 0 :: v_dual_cndmask_b32 v12, v13, v12
	s_ashr_i32 s21, s20, 31
	v_add_nc_u32_e32 v17, 0x200, v0
	v_add_nc_u32_e32 v19, 0x200, v15
	s_wait_kmcnt 0x0
	v_lshl_add_u64 v[8:9], v[6:7], 3, s[24:25]
	v_mad_u32 v18, s20, 12, v12
	v_mov_b64_e32 v[12:13], 0
	s_lshl_b64 s[16:17], s[20:21], 2
	s_delay_alu instid0(SALU_CYCLE_1) | instskip(SKIP_1) | instid1(VALU_DEP_1)
	s_add_nc_u64 s[12:13], s[12:13], s[16:17]
	v_lshl_add_u64 v[10:11], v[10:11], 3, s[24:25]
	v_add_nc_u64_e32 v[10:11], v[10:11], v[0:1]
	v_mov_b32_e32 v0, v1
	s_branch .LBB32_6
.LBB32_5:                               ;   in Loop: Header=BB32_6 Depth=1
	s_or_b32 exec_lo, exec_lo, s16
	s_wait_dscnt 0x0
	s_barrier_signal -1
	s_barrier_wait -1
	ds_load_2addr_b64 v[20:23], v17 offset1:4
	ds_load_b128 v[24:27], v16
	ds_load_b128 v[28:31], v16 offset:16
	ds_load_2addr_b64 v[32:35], v17 offset0:8 offset1:12
	s_add_co_i32 s20, s20, 1
	s_add_nc_u64 s[12:13], s[12:13], 4
	s_cmp_ge_i32 s20, s7
	s_wait_dscnt 0x0
	s_barrier_signal -1
	s_barrier_wait -1
	v_add_nc_u32_e32 v18, 12, v18
	v_pk_fma_f32 v[0:1], v[20:21], v[24:25], v[0:1] op_sel_hi:[1,0,1]
	s_delay_alu instid0(VALU_DEP_1) | instskip(SKIP_1) | instid1(VALU_DEP_2)
	v_pk_fma_f32 v[0:1], v[20:21], v[24:25], v[0:1] op_sel:[1,1,0] op_sel_hi:[0,1,1] neg_lo:[1,0,0]
	v_mov_b32_e32 v20, v27
	v_pk_fma_f32 v[0:1], v[22:23], v[26:27], v[0:1] op_sel_hi:[1,0,1]
	s_delay_alu instid0(VALU_DEP_1) | instskip(SKIP_1) | instid1(VALU_DEP_2)
	v_pk_fma_f32 v[0:1], v[22:23], v[20:21], v[0:1] op_sel:[1,0,0] op_sel_hi:[0,0,1] neg_lo:[1,0,0]
	v_mov_b32_e32 v20, v31
	v_pk_fma_f32 v[0:1], v[32:33], v[28:29], v[0:1] op_sel_hi:[1,0,1]
	s_delay_alu instid0(VALU_DEP_1) | instskip(NEXT) | instid1(VALU_DEP_1)
	v_pk_fma_f32 v[0:1], v[32:33], v[28:29], v[0:1] op_sel:[1,1,0] op_sel_hi:[0,1,1] neg_lo:[1,0,0]
	v_pk_fma_f32 v[0:1], v[34:35], v[30:31], v[0:1] op_sel_hi:[1,0,1]
	s_delay_alu instid0(VALU_DEP_1)
	v_pk_fma_f32 v[0:1], v[34:35], v[20:21], v[0:1] op_sel:[1,0,0] op_sel_hi:[0,0,1] neg_lo:[1,0,0]
	s_cbranch_scc1 .LBB32_15
.LBB32_6:                               ; =>This Inner Loop Header: Depth=1
	s_and_saveexec_b32 s16, s11
	s_delay_alu instid0(SALU_CYCLE_1)
	s_xor_b32 s16, exec_lo, s16
; %bb.7:                                ;   in Loop: Header=BB32_6 Depth=1
	ds_store_b64 v15, v[12:13]
; %bb.8:                                ;   in Loop: Header=BB32_6 Depth=1
	s_and_not1_saveexec_b32 s19, s16
	s_cbranch_execz .LBB32_13
; %bb.9:                                ;   in Loop: Header=BB32_6 Depth=1
	s_load_b32 s16, s[12:13], 0x0
	s_mov_b32 s17, -1
	s_and_b32 vcc_lo, exec_lo, s18
	s_wait_kmcnt 0x0
	s_sub_co_i32 s16, s16, s6
	s_delay_alu instid0(SALU_CYCLE_1)
	s_lshl_b32 s16, s16, 2
	s_cbranch_vccz .LBB32_11
; %bb.10:                               ;   in Loop: Header=BB32_6 Depth=1
	v_or_b32_e32 v20, s16, v14
	s_mov_b32 s17, 0
	s_delay_alu instid0(VALU_DEP_1) | instskip(NEXT) | instid1(VALU_DEP_1)
	v_ashrrev_i32_e32 v21, 31, v20
	v_mul_u64_e32 v[20:21], s[8:9], v[20:21]
	s_delay_alu instid0(VALU_DEP_1)
	v_lshl_add_u64 v[20:21], v[20:21], 3, v[8:9]
	global_load_b64 v[20:21], v[20:21], off
	s_wait_loadcnt 0x0
	ds_store_b64 v15, v[20:21]
.LBB32_11:                              ;   in Loop: Header=BB32_6 Depth=1
	s_and_not1_b32 vcc_lo, exec_lo, s17
	s_cbranch_vccnz .LBB32_13
; %bb.12:                               ;   in Loop: Header=BB32_6 Depth=1
	s_ashr_i32 s17, s16, 31
	s_delay_alu instid0(SALU_CYCLE_1)
	v_lshl_add_u64 v[20:21], s[16:17], 3, v[10:11]
	global_load_b64 v[20:21], v[20:21], off
	s_wait_loadcnt 0x0
	ds_store_b64 v15, v[20:21]
.LBB32_13:                              ;   in Loop: Header=BB32_6 Depth=1
	s_or_b32 exec_lo, exec_lo, s19
	s_and_saveexec_b32 s16, s5
	s_cbranch_execz .LBB32_5
; %bb.14:                               ;   in Loop: Header=BB32_6 Depth=1
	global_load_b64 v[20:21], v18, s[14:15] scale_offset
	s_wait_loadcnt 0x0
	ds_store_b64 v19, v[20:21]
	s_branch .LBB32_5
.LBB32_15:
	s_load_b64 s[6:7], s[0:1], 0x50
	s_and_b32 s4, s22, s4
	s_delay_alu instid0(SALU_CYCLE_1) | instskip(NEXT) | instid1(SALU_CYCLE_1)
	s_and_b32 s3, s4, s3
	s_and_b32 exec_lo, exec_lo, s3
	s_cbranch_execz .LBB32_20
; %bb.16:
	s_wait_xcnt 0x0
	s_load_b64 s[0:1], s[0:1], 0x58
	v_cmp_neq_f32_e32 vcc_lo, 0, v4
	s_wait_kmcnt 0x0
	v_mul_u64_e32 v[8:9], s[0:1], v[6:7]
	v_mad_u32 v6, s10, 3, v14
	s_xor_b32 s0, s2, -1
	s_delay_alu instid0(SALU_CYCLE_1) | instskip(NEXT) | instid1(VALU_DEP_1)
	s_or_b32 s0, vcc_lo, s0
	v_ashrrev_i32_e32 v7, 31, v6
	s_delay_alu instid0(VALU_DEP_3) | instskip(SKIP_2) | instid1(SALU_CYCLE_1)
	v_lshl_add_u64 v[10:11], v[8:9], 3, s[6:7]
	v_xor_b32_e32 v8, 0x80000000, v3
	s_and_saveexec_b32 s1, s0
	s_xor_b32 s0, exec_lo, s1
	s_cbranch_execz .LBB32_18
; %bb.17:
	v_lshl_add_u64 v[6:7], v[6:7], 3, v[10:11]
	v_mov_b32_e32 v9, v2
	global_load_b64 v[10:11], v[6:7], off
	v_pk_mul_f32 v[8:9], v[0:1], v[8:9] op_sel:[1,0]
	s_delay_alu instid0(VALU_DEP_1) | instskip(SKIP_3) | instid1(VALU_DEP_3)
	v_pk_fma_f32 v[0:1], v[2:3], v[0:1], v[8:9] op_sel_hi:[1,0,1]
	v_xor_b32_e32 v2, 0x80000000, v5
	v_mov_b32_e32 v3, v4
                                        ; implicit-def: $vgpr8
	s_wait_loadcnt 0x0
	v_pk_fma_f32 v[0:1], v[4:5], v[10:11], v[0:1] op_sel_hi:[1,0,1]
	s_delay_alu instid0(VALU_DEP_1)
	v_pk_fma_f32 v[0:1], v[2:3], v[10:11], v[0:1] op_sel:[0,1,0]
                                        ; implicit-def: $vgpr10_vgpr11
                                        ; implicit-def: $vgpr2_vgpr3
	global_store_b64 v[6:7], v[0:1], off
                                        ; implicit-def: $vgpr6
                                        ; implicit-def: $vgpr0_vgpr1
.LBB32_18:
	s_wait_xcnt 0x0
	s_and_not1_saveexec_b32 s0, s0
	s_cbranch_execz .LBB32_20
; %bb.19:
	v_mov_b32_e32 v9, v2
	v_lshl_add_u64 v[6:7], v[6:7], 3, v[10:11]
	s_delay_alu instid0(VALU_DEP_2) | instskip(NEXT) | instid1(VALU_DEP_1)
	v_pk_mul_f32 v[4:5], v[0:1], v[8:9] op_sel:[1,0]
	v_pk_fma_f32 v[0:1], v[2:3], v[0:1], v[4:5] op_sel_hi:[1,0,1]
	global_store_b64 v[6:7], v[0:1], off
.LBB32_20:
	s_endpgm
	.section	.rodata,"a",@progbits
	.p2align	6, 0x0
	.amdhsa_kernel _ZN9rocsparseL29gebsrmm_small_blockdim_kernelILi3ELi4ELi4ELi16E21rocsparse_complex_numIfEEEv20rocsparse_direction_20rocsparse_operation_iiNS_24const_host_device_scalarIT3_EEPKiS9_PKS6_iiSB_lS7_PS6_l21rocsparse_index_base_b
		.amdhsa_group_segment_fixed_size 640
		.amdhsa_private_segment_fixed_size 0
		.amdhsa_kernarg_size 104
		.amdhsa_user_sgpr_count 2
		.amdhsa_user_sgpr_dispatch_ptr 0
		.amdhsa_user_sgpr_queue_ptr 0
		.amdhsa_user_sgpr_kernarg_segment_ptr 1
		.amdhsa_user_sgpr_dispatch_id 0
		.amdhsa_user_sgpr_kernarg_preload_length 0
		.amdhsa_user_sgpr_kernarg_preload_offset 0
		.amdhsa_user_sgpr_private_segment_size 0
		.amdhsa_wavefront_size32 1
		.amdhsa_uses_dynamic_stack 0
		.amdhsa_enable_private_segment 0
		.amdhsa_system_sgpr_workgroup_id_x 1
		.amdhsa_system_sgpr_workgroup_id_y 1
		.amdhsa_system_sgpr_workgroup_id_z 0
		.amdhsa_system_sgpr_workgroup_info 0
		.amdhsa_system_vgpr_workitem_id 1
		.amdhsa_next_free_vgpr 36
		.amdhsa_next_free_sgpr 26
		.amdhsa_named_barrier_count 0
		.amdhsa_reserve_vcc 1
		.amdhsa_float_round_mode_32 0
		.amdhsa_float_round_mode_16_64 0
		.amdhsa_float_denorm_mode_32 3
		.amdhsa_float_denorm_mode_16_64 3
		.amdhsa_fp16_overflow 0
		.amdhsa_memory_ordered 1
		.amdhsa_forward_progress 1
		.amdhsa_inst_pref_size 10
		.amdhsa_round_robin_scheduling 0
		.amdhsa_exception_fp_ieee_invalid_op 0
		.amdhsa_exception_fp_denorm_src 0
		.amdhsa_exception_fp_ieee_div_zero 0
		.amdhsa_exception_fp_ieee_overflow 0
		.amdhsa_exception_fp_ieee_underflow 0
		.amdhsa_exception_fp_ieee_inexact 0
		.amdhsa_exception_int_div_zero 0
	.end_amdhsa_kernel
	.section	.text._ZN9rocsparseL29gebsrmm_small_blockdim_kernelILi3ELi4ELi4ELi16E21rocsparse_complex_numIfEEEv20rocsparse_direction_20rocsparse_operation_iiNS_24const_host_device_scalarIT3_EEPKiS9_PKS6_iiSB_lS7_PS6_l21rocsparse_index_base_b,"axG",@progbits,_ZN9rocsparseL29gebsrmm_small_blockdim_kernelILi3ELi4ELi4ELi16E21rocsparse_complex_numIfEEEv20rocsparse_direction_20rocsparse_operation_iiNS_24const_host_device_scalarIT3_EEPKiS9_PKS6_iiSB_lS7_PS6_l21rocsparse_index_base_b,comdat
.Lfunc_end32:
	.size	_ZN9rocsparseL29gebsrmm_small_blockdim_kernelILi3ELi4ELi4ELi16E21rocsparse_complex_numIfEEEv20rocsparse_direction_20rocsparse_operation_iiNS_24const_host_device_scalarIT3_EEPKiS9_PKS6_iiSB_lS7_PS6_l21rocsparse_index_base_b, .Lfunc_end32-_ZN9rocsparseL29gebsrmm_small_blockdim_kernelILi3ELi4ELi4ELi16E21rocsparse_complex_numIfEEEv20rocsparse_direction_20rocsparse_operation_iiNS_24const_host_device_scalarIT3_EEPKiS9_PKS6_iiSB_lS7_PS6_l21rocsparse_index_base_b
                                        ; -- End function
	.set _ZN9rocsparseL29gebsrmm_small_blockdim_kernelILi3ELi4ELi4ELi16E21rocsparse_complex_numIfEEEv20rocsparse_direction_20rocsparse_operation_iiNS_24const_host_device_scalarIT3_EEPKiS9_PKS6_iiSB_lS7_PS6_l21rocsparse_index_base_b.num_vgpr, 36
	.set _ZN9rocsparseL29gebsrmm_small_blockdim_kernelILi3ELi4ELi4ELi16E21rocsparse_complex_numIfEEEv20rocsparse_direction_20rocsparse_operation_iiNS_24const_host_device_scalarIT3_EEPKiS9_PKS6_iiSB_lS7_PS6_l21rocsparse_index_base_b.num_agpr, 0
	.set _ZN9rocsparseL29gebsrmm_small_blockdim_kernelILi3ELi4ELi4ELi16E21rocsparse_complex_numIfEEEv20rocsparse_direction_20rocsparse_operation_iiNS_24const_host_device_scalarIT3_EEPKiS9_PKS6_iiSB_lS7_PS6_l21rocsparse_index_base_b.numbered_sgpr, 26
	.set _ZN9rocsparseL29gebsrmm_small_blockdim_kernelILi3ELi4ELi4ELi16E21rocsparse_complex_numIfEEEv20rocsparse_direction_20rocsparse_operation_iiNS_24const_host_device_scalarIT3_EEPKiS9_PKS6_iiSB_lS7_PS6_l21rocsparse_index_base_b.num_named_barrier, 0
	.set _ZN9rocsparseL29gebsrmm_small_blockdim_kernelILi3ELi4ELi4ELi16E21rocsparse_complex_numIfEEEv20rocsparse_direction_20rocsparse_operation_iiNS_24const_host_device_scalarIT3_EEPKiS9_PKS6_iiSB_lS7_PS6_l21rocsparse_index_base_b.private_seg_size, 0
	.set _ZN9rocsparseL29gebsrmm_small_blockdim_kernelILi3ELi4ELi4ELi16E21rocsparse_complex_numIfEEEv20rocsparse_direction_20rocsparse_operation_iiNS_24const_host_device_scalarIT3_EEPKiS9_PKS6_iiSB_lS7_PS6_l21rocsparse_index_base_b.uses_vcc, 1
	.set _ZN9rocsparseL29gebsrmm_small_blockdim_kernelILi3ELi4ELi4ELi16E21rocsparse_complex_numIfEEEv20rocsparse_direction_20rocsparse_operation_iiNS_24const_host_device_scalarIT3_EEPKiS9_PKS6_iiSB_lS7_PS6_l21rocsparse_index_base_b.uses_flat_scratch, 1
	.set _ZN9rocsparseL29gebsrmm_small_blockdim_kernelILi3ELi4ELi4ELi16E21rocsparse_complex_numIfEEEv20rocsparse_direction_20rocsparse_operation_iiNS_24const_host_device_scalarIT3_EEPKiS9_PKS6_iiSB_lS7_PS6_l21rocsparse_index_base_b.has_dyn_sized_stack, 0
	.set _ZN9rocsparseL29gebsrmm_small_blockdim_kernelILi3ELi4ELi4ELi16E21rocsparse_complex_numIfEEEv20rocsparse_direction_20rocsparse_operation_iiNS_24const_host_device_scalarIT3_EEPKiS9_PKS6_iiSB_lS7_PS6_l21rocsparse_index_base_b.has_recursion, 0
	.set _ZN9rocsparseL29gebsrmm_small_blockdim_kernelILi3ELi4ELi4ELi16E21rocsparse_complex_numIfEEEv20rocsparse_direction_20rocsparse_operation_iiNS_24const_host_device_scalarIT3_EEPKiS9_PKS6_iiSB_lS7_PS6_l21rocsparse_index_base_b.has_indirect_call, 0
	.section	.AMDGPU.csdata,"",@progbits
; Kernel info:
; codeLenInByte = 1208
; TotalNumSgprs: 28
; NumVgprs: 36
; ScratchSize: 0
; MemoryBound: 0
; FloatMode: 240
; IeeeMode: 1
; LDSByteSize: 640 bytes/workgroup (compile time only)
; SGPRBlocks: 0
; VGPRBlocks: 2
; NumSGPRsForWavesPerEU: 28
; NumVGPRsForWavesPerEU: 36
; NamedBarCnt: 0
; Occupancy: 16
; WaveLimiterHint : 1
; COMPUTE_PGM_RSRC2:SCRATCH_EN: 0
; COMPUTE_PGM_RSRC2:USER_SGPR: 2
; COMPUTE_PGM_RSRC2:TRAP_HANDLER: 0
; COMPUTE_PGM_RSRC2:TGID_X_EN: 1
; COMPUTE_PGM_RSRC2:TGID_Y_EN: 1
; COMPUTE_PGM_RSRC2:TGID_Z_EN: 0
; COMPUTE_PGM_RSRC2:TIDIG_COMP_CNT: 1
	.section	.text._ZN9rocsparseL29gebsrmm_small_blockdim_kernelILi4ELi1ELi4ELi16E21rocsparse_complex_numIfEEEv20rocsparse_direction_20rocsparse_operation_iiNS_24const_host_device_scalarIT3_EEPKiS9_PKS6_iiSB_lS7_PS6_l21rocsparse_index_base_b,"axG",@progbits,_ZN9rocsparseL29gebsrmm_small_blockdim_kernelILi4ELi1ELi4ELi16E21rocsparse_complex_numIfEEEv20rocsparse_direction_20rocsparse_operation_iiNS_24const_host_device_scalarIT3_EEPKiS9_PKS6_iiSB_lS7_PS6_l21rocsparse_index_base_b,comdat
	.globl	_ZN9rocsparseL29gebsrmm_small_blockdim_kernelILi4ELi1ELi4ELi16E21rocsparse_complex_numIfEEEv20rocsparse_direction_20rocsparse_operation_iiNS_24const_host_device_scalarIT3_EEPKiS9_PKS6_iiSB_lS7_PS6_l21rocsparse_index_base_b ; -- Begin function _ZN9rocsparseL29gebsrmm_small_blockdim_kernelILi4ELi1ELi4ELi16E21rocsparse_complex_numIfEEEv20rocsparse_direction_20rocsparse_operation_iiNS_24const_host_device_scalarIT3_EEPKiS9_PKS6_iiSB_lS7_PS6_l21rocsparse_index_base_b
	.p2align	8
	.type	_ZN9rocsparseL29gebsrmm_small_blockdim_kernelILi4ELi1ELi4ELi16E21rocsparse_complex_numIfEEEv20rocsparse_direction_20rocsparse_operation_iiNS_24const_host_device_scalarIT3_EEPKiS9_PKS6_iiSB_lS7_PS6_l21rocsparse_index_base_b,@function
_ZN9rocsparseL29gebsrmm_small_blockdim_kernelILi4ELi1ELi4ELi16E21rocsparse_complex_numIfEEEv20rocsparse_direction_20rocsparse_operation_iiNS_24const_host_device_scalarIT3_EEPKiS9_PKS6_iiSB_lS7_PS6_l21rocsparse_index_base_b: ; @_ZN9rocsparseL29gebsrmm_small_blockdim_kernelILi4ELi1ELi4ELi16E21rocsparse_complex_numIfEEEv20rocsparse_direction_20rocsparse_operation_iiNS_24const_host_device_scalarIT3_EEPKiS9_PKS6_iiSB_lS7_PS6_l21rocsparse_index_base_b
; %bb.0:
	s_clause 0x2
	s_load_b64 s[6:7], s[0:1], 0x60
	s_load_b64 s[2:3], s[0:1], 0x10
	s_load_b128 s[8:11], s[0:1], 0x40
	v_mov_b32_e32 v1, 0
	s_add_nc_u64 s[4:5], s[0:1], 16
	s_add_nc_u64 s[12:13], s[0:1], 0x48
	s_mov_b32 s20, 0
	s_wait_kmcnt 0x0
	s_bitcmp1_b32 s7, 0
	s_cselect_b32 s3, s5, s3
	s_cselect_b32 s2, s4, s2
	;; [unrolled: 1-line block ×4, first 2 shown]
	s_clause 0x1
	flat_load_b64 v[2:3], v1, s[2:3]
	flat_load_b64 v[4:5], v1, s[4:5]
	s_wait_loadcnt_dscnt 0x101
	v_cmp_eq_f32_e32 vcc_lo, 0, v2
	v_cmp_eq_f32_e64 s3, 0, v3
	s_wait_loadcnt_dscnt 0x0
	v_cmp_eq_f32_e64 s4, 1.0, v4
	v_cmp_eq_f32_e64 s2, 0, v5
	s_and_b32 s3, vcc_lo, s3
	s_and_b32 s4, s4, s2
	s_delay_alu instid0(SALU_CYCLE_1) | instskip(NEXT) | instid1(SALU_CYCLE_1)
	s_and_b32 s3, s3, s4
	s_xor_b32 s3, s3, -1
	s_delay_alu instid0(SALU_CYCLE_1)
	s_and_saveexec_b32 s4, s3
	s_cbranch_execz .LBB33_20
; %bb.1:
	s_load_b96 s[16:18], s[0:1], 0x4
	s_bfe_u32 s3, ttmp6, 0x4000c
	s_and_b32 s4, ttmp6, 15
	s_add_co_i32 s3, s3, 1
	s_mov_b32 s7, 0
	s_mul_i32 s5, ttmp9, s3
	s_getreg_b32 s3, hwreg(HW_REG_IB_STS2, 6, 4)
	s_add_co_i32 s4, s4, s5
	s_cmp_eq_u32 s3, 0
	s_cselect_b32 s10, ttmp9, s4
	s_wait_kmcnt 0x0
	s_cmp_lt_i32 s10, s17
	s_cselect_b32 s19, -1, 0
	s_cmp_ge_i32 s10, s17
	s_cbranch_scc1 .LBB33_3
; %bb.2:
	s_load_b64 s[4:5], s[0:1], 0x18
	s_ashr_i32 s11, s10, 31
	s_delay_alu instid0(SALU_CYCLE_1)
	s_lshl_b64 s[12:13], s[10:11], 2
	s_wait_kmcnt 0x0
	s_add_nc_u64 s[4:5], s[4:5], s[12:13]
	s_load_b64 s[12:13], s[4:5], 0x0
	s_wait_kmcnt 0x0
	s_sub_co_i32 s20, s12, s6
	s_sub_co_i32 s7, s13, s6
.LBB33_3:
	s_bfe_u32 s4, ttmp6, 0x40010
	s_bfe_u32 s5, ttmp6, 0x40004
	s_add_co_i32 s4, s4, 1
	v_bfe_u32 v8, v0, 10, 10
	s_mul_i32 s4, ttmp7, s4
	v_and_b32_e32 v14, 0x3ff, v0
	s_add_co_i32 s5, s5, s4
	s_cmp_eq_u32 s3, 0
	s_cselect_b32 s3, ttmp7, s5
	s_cmp_ge_i32 s20, s7
	v_lshl_add_u32 v6, s3, 4, v8
	v_mov_b32_e32 v1, 0
	v_cmp_gt_u32_e64 s3, 4, v14
	s_delay_alu instid0(VALU_DEP_3) | instskip(SKIP_1) | instid1(VALU_DEP_4)
	v_ashrrev_i32_e32 v7, 31, v6
	v_cmp_gt_i32_e64 s4, s18, v6
	v_mov_b32_e32 v0, v1
	s_cbranch_scc1 .LBB33_15
; %bb.4:
	v_mul_u64_e32 v[12:13], s[8:9], v[6:7]
	s_clause 0x1
	s_load_b64 s[22:23], s[0:1], 0x38
	s_load_b128 s[12:15], s[0:1], 0x20
	v_dual_lshlrev_b32 v1, 2, v8 :: v_dual_lshlrev_b32 v16, 5, v8
	v_cmp_ne_u32_e32 vcc_lo, 0, v14
	v_cmp_eq_u32_e64 s5, 0, v8
	s_xor_b32 s11, s4, -1
	v_add_lshl_u32 v18, v1, v14, 3
	v_mov_b32_e32 v0, 0
	s_or_b32 s11, vcc_lo, s11
	s_and_b32 s5, s3, s5
	s_cmp_lg_u32 s16, 0x6f
	v_mov_b64_e32 v[8:9], 0
	s_cselect_b32 s18, -1, 0
	s_ashr_i32 s21, s20, 31
	v_lshl_add_u32 v15, v14, 3, 0x200
	v_lshl_add_u32 v17, s20, 2, v14
	v_add_nc_u32_e32 v19, 0x200, v18
	v_mov_b32_e32 v1, v0
	s_lshl_b64 s[16:17], s[20:21], 2
	s_wait_kmcnt 0x0
	v_lshl_add_u64 v[10:11], v[6:7], 3, s[22:23]
	s_add_nc_u64 s[12:13], s[12:13], s[16:17]
	v_lshl_add_u64 v[12:13], v[12:13], 3, s[22:23]
	s_branch .LBB33_6
.LBB33_5:                               ;   in Loop: Header=BB33_6 Depth=1
	s_or_b32 exec_lo, exec_lo, s16
	s_wait_dscnt 0x0
	s_barrier_signal -1
	s_barrier_wait -1
	ds_load_b64 v[20:21], v16
	ds_load_b64 v[22:23], v15
	v_add_nc_u32_e32 v17, 4, v17
	s_add_co_i32 s20, s20, 1
	s_add_nc_u64 s[12:13], s[12:13], 4
	s_cmp_ge_i32 s20, s7
	s_wait_dscnt 0x0
	s_barrier_signal -1
	s_barrier_wait -1
	v_pk_fma_f32 v[0:1], v[22:23], v[20:21], v[0:1] op_sel_hi:[1,0,1]
	s_delay_alu instid0(VALU_DEP_1)
	v_pk_fma_f32 v[0:1], v[22:23], v[20:21], v[0:1] op_sel:[1,1,0] op_sel_hi:[0,1,1] neg_lo:[1,0,0]
	s_cbranch_scc1 .LBB33_15
.LBB33_6:                               ; =>This Inner Loop Header: Depth=1
	s_and_saveexec_b32 s16, s11
	s_delay_alu instid0(SALU_CYCLE_1)
	s_xor_b32 s16, exec_lo, s16
; %bb.7:                                ;   in Loop: Header=BB33_6 Depth=1
	ds_store_b64 v18, v[8:9]
; %bb.8:                                ;   in Loop: Header=BB33_6 Depth=1
	s_and_not1_saveexec_b32 s21, s16
	s_cbranch_execz .LBB33_13
; %bb.9:                                ;   in Loop: Header=BB33_6 Depth=1
	s_load_b32 s16, s[12:13], 0x0
	s_mov_b32 s22, -1
	s_and_b32 vcc_lo, exec_lo, s18
	s_wait_kmcnt 0x0
	s_sub_co_i32 s16, s16, s6
	s_delay_alu instid0(SALU_CYCLE_1)
	s_ashr_i32 s17, s16, 31
	s_cbranch_vccz .LBB33_11
; %bb.10:                               ;   in Loop: Header=BB33_6 Depth=1
	s_mul_u64 s[22:23], s[8:9], s[16:17]
	s_delay_alu instid0(SALU_CYCLE_1)
	v_lshl_add_u64 v[20:21], s[22:23], 3, v[10:11]
	s_mov_b32 s22, 0
	global_load_b64 v[20:21], v[20:21], off
	s_wait_loadcnt 0x0
	ds_store_b64 v18, v[20:21]
.LBB33_11:                              ;   in Loop: Header=BB33_6 Depth=1
	s_and_not1_b32 vcc_lo, exec_lo, s22
	s_cbranch_vccnz .LBB33_13
; %bb.12:                               ;   in Loop: Header=BB33_6 Depth=1
	v_lshl_add_u64 v[20:21], s[16:17], 3, v[12:13]
	global_load_b64 v[20:21], v[20:21], off
	s_wait_loadcnt 0x0
	ds_store_b64 v18, v[20:21]
.LBB33_13:                              ;   in Loop: Header=BB33_6 Depth=1
	s_or_b32 exec_lo, exec_lo, s21
	s_and_saveexec_b32 s16, s5
	s_cbranch_execz .LBB33_5
; %bb.14:                               ;   in Loop: Header=BB33_6 Depth=1
	global_load_b64 v[20:21], v17, s[14:15] scale_offset
	s_wait_loadcnt 0x0
	ds_store_b64 v19, v[20:21]
	s_branch .LBB33_5
.LBB33_15:
	s_load_b64 s[6:7], s[0:1], 0x50
	s_and_b32 s4, s19, s4
	s_delay_alu instid0(SALU_CYCLE_1) | instskip(NEXT) | instid1(SALU_CYCLE_1)
	s_and_b32 s3, s4, s3
	s_and_b32 exec_lo, exec_lo, s3
	s_cbranch_execz .LBB33_20
; %bb.16:
	s_wait_xcnt 0x0
	s_load_b64 s[0:1], s[0:1], 0x58
	v_cmp_neq_f32_e32 vcc_lo, 0, v4
	s_wait_kmcnt 0x0
	v_mul_u64_e32 v[8:9], s[0:1], v[6:7]
	v_lshl_add_u32 v6, s10, 2, v14
	s_xor_b32 s0, s2, -1
	s_delay_alu instid0(SALU_CYCLE_1) | instskip(NEXT) | instid1(VALU_DEP_1)
	s_or_b32 s0, vcc_lo, s0
	v_ashrrev_i32_e32 v7, 31, v6
	s_delay_alu instid0(VALU_DEP_3) | instskip(SKIP_2) | instid1(SALU_CYCLE_1)
	v_lshl_add_u64 v[10:11], v[8:9], 3, s[6:7]
	v_xor_b32_e32 v8, 0x80000000, v3
	s_and_saveexec_b32 s1, s0
	s_xor_b32 s0, exec_lo, s1
	s_cbranch_execz .LBB33_18
; %bb.17:
	v_lshl_add_u64 v[6:7], v[6:7], 3, v[10:11]
	v_mov_b32_e32 v9, v2
	global_load_b64 v[10:11], v[6:7], off
	v_pk_mul_f32 v[8:9], v[0:1], v[8:9] op_sel:[1,0]
	s_delay_alu instid0(VALU_DEP_1) | instskip(SKIP_3) | instid1(VALU_DEP_3)
	v_pk_fma_f32 v[0:1], v[2:3], v[0:1], v[8:9] op_sel_hi:[1,0,1]
	v_xor_b32_e32 v2, 0x80000000, v5
	v_mov_b32_e32 v3, v4
                                        ; implicit-def: $vgpr8
	s_wait_loadcnt 0x0
	v_pk_fma_f32 v[0:1], v[4:5], v[10:11], v[0:1] op_sel_hi:[1,0,1]
	s_delay_alu instid0(VALU_DEP_1)
	v_pk_fma_f32 v[0:1], v[2:3], v[10:11], v[0:1] op_sel:[0,1,0]
                                        ; implicit-def: $vgpr10_vgpr11
                                        ; implicit-def: $vgpr2_vgpr3
	global_store_b64 v[6:7], v[0:1], off
                                        ; implicit-def: $vgpr6
                                        ; implicit-def: $vgpr0_vgpr1
.LBB33_18:
	s_wait_xcnt 0x0
	s_and_not1_saveexec_b32 s0, s0
	s_cbranch_execz .LBB33_20
; %bb.19:
	v_mov_b32_e32 v9, v2
	v_lshl_add_u64 v[6:7], v[6:7], 3, v[10:11]
	s_delay_alu instid0(VALU_DEP_2) | instskip(NEXT) | instid1(VALU_DEP_1)
	v_pk_mul_f32 v[4:5], v[0:1], v[8:9] op_sel:[1,0]
	v_pk_fma_f32 v[0:1], v[2:3], v[0:1], v[4:5] op_sel_hi:[1,0,1]
	global_store_b64 v[6:7], v[0:1], off
.LBB33_20:
	s_endpgm
	.section	.rodata,"a",@progbits
	.p2align	6, 0x0
	.amdhsa_kernel _ZN9rocsparseL29gebsrmm_small_blockdim_kernelILi4ELi1ELi4ELi16E21rocsparse_complex_numIfEEEv20rocsparse_direction_20rocsparse_operation_iiNS_24const_host_device_scalarIT3_EEPKiS9_PKS6_iiSB_lS7_PS6_l21rocsparse_index_base_b
		.amdhsa_group_segment_fixed_size 640
		.amdhsa_private_segment_fixed_size 0
		.amdhsa_kernarg_size 104
		.amdhsa_user_sgpr_count 2
		.amdhsa_user_sgpr_dispatch_ptr 0
		.amdhsa_user_sgpr_queue_ptr 0
		.amdhsa_user_sgpr_kernarg_segment_ptr 1
		.amdhsa_user_sgpr_dispatch_id 0
		.amdhsa_user_sgpr_kernarg_preload_length 0
		.amdhsa_user_sgpr_kernarg_preload_offset 0
		.amdhsa_user_sgpr_private_segment_size 0
		.amdhsa_wavefront_size32 1
		.amdhsa_uses_dynamic_stack 0
		.amdhsa_enable_private_segment 0
		.amdhsa_system_sgpr_workgroup_id_x 1
		.amdhsa_system_sgpr_workgroup_id_y 1
		.amdhsa_system_sgpr_workgroup_id_z 0
		.amdhsa_system_sgpr_workgroup_info 0
		.amdhsa_system_vgpr_workitem_id 1
		.amdhsa_next_free_vgpr 24
		.amdhsa_next_free_sgpr 24
		.amdhsa_named_barrier_count 0
		.amdhsa_reserve_vcc 1
		.amdhsa_float_round_mode_32 0
		.amdhsa_float_round_mode_16_64 0
		.amdhsa_float_denorm_mode_32 3
		.amdhsa_float_denorm_mode_16_64 3
		.amdhsa_fp16_overflow 0
		.amdhsa_memory_ordered 1
		.amdhsa_forward_progress 1
		.amdhsa_inst_pref_size 9
		.amdhsa_round_robin_scheduling 0
		.amdhsa_exception_fp_ieee_invalid_op 0
		.amdhsa_exception_fp_denorm_src 0
		.amdhsa_exception_fp_ieee_div_zero 0
		.amdhsa_exception_fp_ieee_overflow 0
		.amdhsa_exception_fp_ieee_underflow 0
		.amdhsa_exception_fp_ieee_inexact 0
		.amdhsa_exception_int_div_zero 0
	.end_amdhsa_kernel
	.section	.text._ZN9rocsparseL29gebsrmm_small_blockdim_kernelILi4ELi1ELi4ELi16E21rocsparse_complex_numIfEEEv20rocsparse_direction_20rocsparse_operation_iiNS_24const_host_device_scalarIT3_EEPKiS9_PKS6_iiSB_lS7_PS6_l21rocsparse_index_base_b,"axG",@progbits,_ZN9rocsparseL29gebsrmm_small_blockdim_kernelILi4ELi1ELi4ELi16E21rocsparse_complex_numIfEEEv20rocsparse_direction_20rocsparse_operation_iiNS_24const_host_device_scalarIT3_EEPKiS9_PKS6_iiSB_lS7_PS6_l21rocsparse_index_base_b,comdat
.Lfunc_end33:
	.size	_ZN9rocsparseL29gebsrmm_small_blockdim_kernelILi4ELi1ELi4ELi16E21rocsparse_complex_numIfEEEv20rocsparse_direction_20rocsparse_operation_iiNS_24const_host_device_scalarIT3_EEPKiS9_PKS6_iiSB_lS7_PS6_l21rocsparse_index_base_b, .Lfunc_end33-_ZN9rocsparseL29gebsrmm_small_blockdim_kernelILi4ELi1ELi4ELi16E21rocsparse_complex_numIfEEEv20rocsparse_direction_20rocsparse_operation_iiNS_24const_host_device_scalarIT3_EEPKiS9_PKS6_iiSB_lS7_PS6_l21rocsparse_index_base_b
                                        ; -- End function
	.set _ZN9rocsparseL29gebsrmm_small_blockdim_kernelILi4ELi1ELi4ELi16E21rocsparse_complex_numIfEEEv20rocsparse_direction_20rocsparse_operation_iiNS_24const_host_device_scalarIT3_EEPKiS9_PKS6_iiSB_lS7_PS6_l21rocsparse_index_base_b.num_vgpr, 24
	.set _ZN9rocsparseL29gebsrmm_small_blockdim_kernelILi4ELi1ELi4ELi16E21rocsparse_complex_numIfEEEv20rocsparse_direction_20rocsparse_operation_iiNS_24const_host_device_scalarIT3_EEPKiS9_PKS6_iiSB_lS7_PS6_l21rocsparse_index_base_b.num_agpr, 0
	.set _ZN9rocsparseL29gebsrmm_small_blockdim_kernelILi4ELi1ELi4ELi16E21rocsparse_complex_numIfEEEv20rocsparse_direction_20rocsparse_operation_iiNS_24const_host_device_scalarIT3_EEPKiS9_PKS6_iiSB_lS7_PS6_l21rocsparse_index_base_b.numbered_sgpr, 24
	.set _ZN9rocsparseL29gebsrmm_small_blockdim_kernelILi4ELi1ELi4ELi16E21rocsparse_complex_numIfEEEv20rocsparse_direction_20rocsparse_operation_iiNS_24const_host_device_scalarIT3_EEPKiS9_PKS6_iiSB_lS7_PS6_l21rocsparse_index_base_b.num_named_barrier, 0
	.set _ZN9rocsparseL29gebsrmm_small_blockdim_kernelILi4ELi1ELi4ELi16E21rocsparse_complex_numIfEEEv20rocsparse_direction_20rocsparse_operation_iiNS_24const_host_device_scalarIT3_EEPKiS9_PKS6_iiSB_lS7_PS6_l21rocsparse_index_base_b.private_seg_size, 0
	.set _ZN9rocsparseL29gebsrmm_small_blockdim_kernelILi4ELi1ELi4ELi16E21rocsparse_complex_numIfEEEv20rocsparse_direction_20rocsparse_operation_iiNS_24const_host_device_scalarIT3_EEPKiS9_PKS6_iiSB_lS7_PS6_l21rocsparse_index_base_b.uses_vcc, 1
	.set _ZN9rocsparseL29gebsrmm_small_blockdim_kernelILi4ELi1ELi4ELi16E21rocsparse_complex_numIfEEEv20rocsparse_direction_20rocsparse_operation_iiNS_24const_host_device_scalarIT3_EEPKiS9_PKS6_iiSB_lS7_PS6_l21rocsparse_index_base_b.uses_flat_scratch, 1
	.set _ZN9rocsparseL29gebsrmm_small_blockdim_kernelILi4ELi1ELi4ELi16E21rocsparse_complex_numIfEEEv20rocsparse_direction_20rocsparse_operation_iiNS_24const_host_device_scalarIT3_EEPKiS9_PKS6_iiSB_lS7_PS6_l21rocsparse_index_base_b.has_dyn_sized_stack, 0
	.set _ZN9rocsparseL29gebsrmm_small_blockdim_kernelILi4ELi1ELi4ELi16E21rocsparse_complex_numIfEEEv20rocsparse_direction_20rocsparse_operation_iiNS_24const_host_device_scalarIT3_EEPKiS9_PKS6_iiSB_lS7_PS6_l21rocsparse_index_base_b.has_recursion, 0
	.set _ZN9rocsparseL29gebsrmm_small_blockdim_kernelILi4ELi1ELi4ELi16E21rocsparse_complex_numIfEEEv20rocsparse_direction_20rocsparse_operation_iiNS_24const_host_device_scalarIT3_EEPKiS9_PKS6_iiSB_lS7_PS6_l21rocsparse_index_base_b.has_indirect_call, 0
	.section	.AMDGPU.csdata,"",@progbits
; Kernel info:
; codeLenInByte = 1072
; TotalNumSgprs: 26
; NumVgprs: 24
; ScratchSize: 0
; MemoryBound: 0
; FloatMode: 240
; IeeeMode: 1
; LDSByteSize: 640 bytes/workgroup (compile time only)
; SGPRBlocks: 0
; VGPRBlocks: 1
; NumSGPRsForWavesPerEU: 26
; NumVGPRsForWavesPerEU: 24
; NamedBarCnt: 0
; Occupancy: 16
; WaveLimiterHint : 1
; COMPUTE_PGM_RSRC2:SCRATCH_EN: 0
; COMPUTE_PGM_RSRC2:USER_SGPR: 2
; COMPUTE_PGM_RSRC2:TRAP_HANDLER: 0
; COMPUTE_PGM_RSRC2:TGID_X_EN: 1
; COMPUTE_PGM_RSRC2:TGID_Y_EN: 1
; COMPUTE_PGM_RSRC2:TGID_Z_EN: 0
; COMPUTE_PGM_RSRC2:TIDIG_COMP_CNT: 1
	.section	.text._ZN9rocsparseL29gebsrmm_small_blockdim_kernelILi4ELi2ELi4ELi16E21rocsparse_complex_numIfEEEv20rocsparse_direction_20rocsparse_operation_iiNS_24const_host_device_scalarIT3_EEPKiS9_PKS6_iiSB_lS7_PS6_l21rocsparse_index_base_b,"axG",@progbits,_ZN9rocsparseL29gebsrmm_small_blockdim_kernelILi4ELi2ELi4ELi16E21rocsparse_complex_numIfEEEv20rocsparse_direction_20rocsparse_operation_iiNS_24const_host_device_scalarIT3_EEPKiS9_PKS6_iiSB_lS7_PS6_l21rocsparse_index_base_b,comdat
	.globl	_ZN9rocsparseL29gebsrmm_small_blockdim_kernelILi4ELi2ELi4ELi16E21rocsparse_complex_numIfEEEv20rocsparse_direction_20rocsparse_operation_iiNS_24const_host_device_scalarIT3_EEPKiS9_PKS6_iiSB_lS7_PS6_l21rocsparse_index_base_b ; -- Begin function _ZN9rocsparseL29gebsrmm_small_blockdim_kernelILi4ELi2ELi4ELi16E21rocsparse_complex_numIfEEEv20rocsparse_direction_20rocsparse_operation_iiNS_24const_host_device_scalarIT3_EEPKiS9_PKS6_iiSB_lS7_PS6_l21rocsparse_index_base_b
	.p2align	8
	.type	_ZN9rocsparseL29gebsrmm_small_blockdim_kernelILi4ELi2ELi4ELi16E21rocsparse_complex_numIfEEEv20rocsparse_direction_20rocsparse_operation_iiNS_24const_host_device_scalarIT3_EEPKiS9_PKS6_iiSB_lS7_PS6_l21rocsparse_index_base_b,@function
_ZN9rocsparseL29gebsrmm_small_blockdim_kernelILi4ELi2ELi4ELi16E21rocsparse_complex_numIfEEEv20rocsparse_direction_20rocsparse_operation_iiNS_24const_host_device_scalarIT3_EEPKiS9_PKS6_iiSB_lS7_PS6_l21rocsparse_index_base_b: ; @_ZN9rocsparseL29gebsrmm_small_blockdim_kernelILi4ELi2ELi4ELi16E21rocsparse_complex_numIfEEEv20rocsparse_direction_20rocsparse_operation_iiNS_24const_host_device_scalarIT3_EEPKiS9_PKS6_iiSB_lS7_PS6_l21rocsparse_index_base_b
; %bb.0:
	s_clause 0x2
	s_load_b64 s[6:7], s[0:1], 0x60
	s_load_b64 s[2:3], s[0:1], 0x10
	s_load_b128 s[8:11], s[0:1], 0x40
	v_mov_b32_e32 v1, 0
	s_add_nc_u64 s[4:5], s[0:1], 16
	s_add_nc_u64 s[12:13], s[0:1], 0x48
	s_mov_b32 s20, 0
	s_wait_kmcnt 0x0
	s_bitcmp1_b32 s7, 0
	s_cselect_b32 s3, s5, s3
	s_cselect_b32 s2, s4, s2
	;; [unrolled: 1-line block ×4, first 2 shown]
	s_clause 0x1
	flat_load_b64 v[2:3], v1, s[2:3]
	flat_load_b64 v[4:5], v1, s[4:5]
	s_wait_loadcnt_dscnt 0x101
	v_cmp_eq_f32_e32 vcc_lo, 0, v2
	v_cmp_eq_f32_e64 s3, 0, v3
	s_wait_loadcnt_dscnt 0x0
	v_cmp_eq_f32_e64 s4, 1.0, v4
	v_cmp_eq_f32_e64 s2, 0, v5
	s_and_b32 s3, vcc_lo, s3
	s_and_b32 s4, s4, s2
	s_delay_alu instid0(SALU_CYCLE_1) | instskip(NEXT) | instid1(SALU_CYCLE_1)
	s_and_b32 s3, s3, s4
	s_xor_b32 s3, s3, -1
	s_delay_alu instid0(SALU_CYCLE_1)
	s_and_saveexec_b32 s4, s3
	s_cbranch_execz .LBB34_20
; %bb.1:
	s_load_b128 s[16:19], s[0:1], 0x0
	s_bfe_u32 s3, ttmp6, 0x4000c
	s_and_b32 s4, ttmp6, 15
	s_add_co_i32 s3, s3, 1
	s_mov_b32 s7, 0
	s_mul_i32 s5, ttmp9, s3
	s_getreg_b32 s3, hwreg(HW_REG_IB_STS2, 6, 4)
	s_add_co_i32 s4, s4, s5
	s_cmp_eq_u32 s3, 0
	s_cselect_b32 s10, ttmp9, s4
	s_wait_kmcnt 0x0
	s_cmp_lt_i32 s10, s18
	s_cselect_b32 s22, -1, 0
	s_cmp_ge_i32 s10, s18
	s_cbranch_scc1 .LBB34_3
; %bb.2:
	s_load_b64 s[4:5], s[0:1], 0x18
	s_ashr_i32 s11, s10, 31
	s_delay_alu instid0(SALU_CYCLE_1)
	s_lshl_b64 s[12:13], s[10:11], 2
	s_wait_kmcnt 0x0
	s_add_nc_u64 s[4:5], s[4:5], s[12:13]
	s_load_b64 s[12:13], s[4:5], 0x0
	s_wait_kmcnt 0x0
	s_sub_co_i32 s20, s12, s6
	s_sub_co_i32 s7, s13, s6
.LBB34_3:
	s_bfe_u32 s4, ttmp6, 0x40010
	s_bfe_u32 s5, ttmp6, 0x40004
	s_add_co_i32 s4, s4, 1
	v_bfe_u32 v8, v0, 10, 10
	s_mul_i32 s4, ttmp7, s4
	v_and_b32_e32 v14, 0x3ff, v0
	s_add_co_i32 s5, s5, s4
	s_cmp_eq_u32 s3, 0
	s_cselect_b32 s3, ttmp7, s5
	s_cmp_ge_i32 s20, s7
	v_lshl_add_u32 v6, s3, 4, v8
	v_mov_b32_e32 v1, 0
	v_cmp_gt_u32_e64 s3, 4, v14
	s_delay_alu instid0(VALU_DEP_3) | instskip(SKIP_1) | instid1(VALU_DEP_4)
	v_ashrrev_i32_e32 v7, 31, v6
	v_cmp_gt_i32_e64 s4, s19, v6
	v_mov_b32_e32 v0, v1
	s_cbranch_scc1 .LBB34_15
; %bb.4:
	v_mul_u64_e32 v[10:11], s[8:9], v[6:7]
	s_clause 0x1
	s_load_b64 s[24:25], s[0:1], 0x38
	s_load_b128 s[12:15], s[0:1], 0x20
	v_cmp_lt_u32_e32 vcc_lo, 1, v14
	v_cmp_gt_u32_e64 s5, 2, v8
	s_xor_b32 s11, s4, -1
	v_lshl_add_u32 v9, v8, 2, v14
	v_lshl_add_u32 v12, v14, 1, v8
	s_or_b32 s11, s11, vcc_lo
	s_and_b32 s5, s3, s5
	s_cmp_lg_u32 s17, 0x6f
	v_dual_mov_b32 v1, 0 :: v_dual_lshlrev_b32 v0, 3, v14
	s_cselect_b32 s18, -1, 0
	s_cmp_eq_u32 s16, 0
	v_dual_lshlrev_b32 v15, 5, v8 :: v_dual_lshlrev_b32 v16, 3, v9
	s_cselect_b32 vcc_lo, -1, 0
	s_ashr_i32 s21, s20, 31
	v_cndmask_b32_e32 v19, v9, v12, vcc_lo
	v_mov_b64_e32 v[12:13], 0
	v_add_nc_u32_e32 v17, 0x200, v0
	v_add_nc_u32_e32 v18, 0x200, v16
	s_wait_kmcnt 0x0
	v_lshl_add_u64 v[8:9], v[6:7], 3, s[24:25]
	v_lshl_add_u32 v19, s20, 3, v19
	s_lshl_b64 s[16:17], s[20:21], 2
	s_delay_alu instid0(SALU_CYCLE_1) | instskip(SKIP_1) | instid1(VALU_DEP_1)
	s_add_nc_u64 s[12:13], s[12:13], s[16:17]
	v_lshl_add_u64 v[10:11], v[10:11], 3, s[24:25]
	v_add_nc_u64_e32 v[10:11], v[10:11], v[0:1]
	v_mov_b32_e32 v0, v1
	s_branch .LBB34_6
.LBB34_5:                               ;   in Loop: Header=BB34_6 Depth=1
	s_or_b32 exec_lo, exec_lo, s16
	s_wait_dscnt 0x0
	s_barrier_signal -1
	s_barrier_wait -1
	ds_load_b128 v[20:23], v15
	ds_load_2addr_b64 v[24:27], v17 offset1:4
	s_add_co_i32 s20, s20, 1
	s_add_nc_u64 s[12:13], s[12:13], 4
	s_cmp_ge_i32 s20, s7
	s_wait_dscnt 0x0
	s_barrier_signal -1
	s_barrier_wait -1
	v_add_nc_u32_e32 v19, 8, v19
	v_pk_fma_f32 v[0:1], v[24:25], v[20:21], v[0:1] op_sel_hi:[1,0,1]
	s_delay_alu instid0(VALU_DEP_1) | instskip(SKIP_1) | instid1(VALU_DEP_2)
	v_pk_fma_f32 v[0:1], v[24:25], v[20:21], v[0:1] op_sel:[1,1,0] op_sel_hi:[0,1,1] neg_lo:[1,0,0]
	v_mov_b32_e32 v20, v23
	v_pk_fma_f32 v[0:1], v[26:27], v[22:23], v[0:1] op_sel_hi:[1,0,1]
	s_delay_alu instid0(VALU_DEP_1)
	v_pk_fma_f32 v[0:1], v[26:27], v[20:21], v[0:1] op_sel:[1,0,0] op_sel_hi:[0,0,1] neg_lo:[1,0,0]
	s_cbranch_scc1 .LBB34_15
.LBB34_6:                               ; =>This Inner Loop Header: Depth=1
	s_and_saveexec_b32 s16, s11
	s_delay_alu instid0(SALU_CYCLE_1)
	s_xor_b32 s16, exec_lo, s16
; %bb.7:                                ;   in Loop: Header=BB34_6 Depth=1
	ds_store_b64 v16, v[12:13]
; %bb.8:                                ;   in Loop: Header=BB34_6 Depth=1
	s_and_not1_saveexec_b32 s19, s16
	s_cbranch_execz .LBB34_13
; %bb.9:                                ;   in Loop: Header=BB34_6 Depth=1
	s_load_b32 s16, s[12:13], 0x0
	s_mov_b32 s17, -1
	s_and_b32 vcc_lo, exec_lo, s18
	s_wait_kmcnt 0x0
	s_sub_co_i32 s16, s16, s6
	s_delay_alu instid0(SALU_CYCLE_1)
	s_lshl_b32 s16, s16, 1
	s_cbranch_vccz .LBB34_11
; %bb.10:                               ;   in Loop: Header=BB34_6 Depth=1
	v_or_b32_e32 v20, s16, v14
	s_mov_b32 s17, 0
	s_delay_alu instid0(VALU_DEP_1) | instskip(NEXT) | instid1(VALU_DEP_1)
	v_ashrrev_i32_e32 v21, 31, v20
	v_mul_u64_e32 v[20:21], s[8:9], v[20:21]
	s_delay_alu instid0(VALU_DEP_1)
	v_lshl_add_u64 v[20:21], v[20:21], 3, v[8:9]
	global_load_b64 v[20:21], v[20:21], off
	s_wait_loadcnt 0x0
	ds_store_b64 v16, v[20:21]
.LBB34_11:                              ;   in Loop: Header=BB34_6 Depth=1
	s_and_not1_b32 vcc_lo, exec_lo, s17
	s_cbranch_vccnz .LBB34_13
; %bb.12:                               ;   in Loop: Header=BB34_6 Depth=1
	s_ashr_i32 s17, s16, 31
	s_delay_alu instid0(SALU_CYCLE_1)
	v_lshl_add_u64 v[20:21], s[16:17], 3, v[10:11]
	global_load_b64 v[20:21], v[20:21], off
	s_wait_loadcnt 0x0
	ds_store_b64 v16, v[20:21]
.LBB34_13:                              ;   in Loop: Header=BB34_6 Depth=1
	s_or_b32 exec_lo, exec_lo, s19
	s_and_saveexec_b32 s16, s5
	s_cbranch_execz .LBB34_5
; %bb.14:                               ;   in Loop: Header=BB34_6 Depth=1
	global_load_b64 v[20:21], v19, s[14:15] scale_offset
	s_wait_loadcnt 0x0
	ds_store_b64 v18, v[20:21]
	s_branch .LBB34_5
.LBB34_15:
	s_load_b64 s[6:7], s[0:1], 0x50
	s_and_b32 s4, s22, s4
	s_delay_alu instid0(SALU_CYCLE_1) | instskip(NEXT) | instid1(SALU_CYCLE_1)
	s_and_b32 s3, s4, s3
	s_and_b32 exec_lo, exec_lo, s3
	s_cbranch_execz .LBB34_20
; %bb.16:
	s_wait_xcnt 0x0
	s_load_b64 s[0:1], s[0:1], 0x58
	v_cmp_neq_f32_e32 vcc_lo, 0, v4
	s_wait_kmcnt 0x0
	v_mul_u64_e32 v[8:9], s[0:1], v[6:7]
	v_lshl_add_u32 v6, s10, 2, v14
	s_xor_b32 s0, s2, -1
	s_delay_alu instid0(SALU_CYCLE_1) | instskip(NEXT) | instid1(VALU_DEP_1)
	s_or_b32 s0, vcc_lo, s0
	v_ashrrev_i32_e32 v7, 31, v6
	s_delay_alu instid0(VALU_DEP_3) | instskip(SKIP_2) | instid1(SALU_CYCLE_1)
	v_lshl_add_u64 v[10:11], v[8:9], 3, s[6:7]
	v_xor_b32_e32 v8, 0x80000000, v3
	s_and_saveexec_b32 s1, s0
	s_xor_b32 s0, exec_lo, s1
	s_cbranch_execz .LBB34_18
; %bb.17:
	v_lshl_add_u64 v[6:7], v[6:7], 3, v[10:11]
	v_mov_b32_e32 v9, v2
	global_load_b64 v[10:11], v[6:7], off
	v_pk_mul_f32 v[8:9], v[0:1], v[8:9] op_sel:[1,0]
	s_delay_alu instid0(VALU_DEP_1) | instskip(SKIP_3) | instid1(VALU_DEP_3)
	v_pk_fma_f32 v[0:1], v[2:3], v[0:1], v[8:9] op_sel_hi:[1,0,1]
	v_xor_b32_e32 v2, 0x80000000, v5
	v_mov_b32_e32 v3, v4
                                        ; implicit-def: $vgpr8
	s_wait_loadcnt 0x0
	v_pk_fma_f32 v[0:1], v[4:5], v[10:11], v[0:1] op_sel_hi:[1,0,1]
	s_delay_alu instid0(VALU_DEP_1)
	v_pk_fma_f32 v[0:1], v[2:3], v[10:11], v[0:1] op_sel:[0,1,0]
                                        ; implicit-def: $vgpr10_vgpr11
                                        ; implicit-def: $vgpr2_vgpr3
	global_store_b64 v[6:7], v[0:1], off
                                        ; implicit-def: $vgpr6
                                        ; implicit-def: $vgpr0_vgpr1
.LBB34_18:
	s_wait_xcnt 0x0
	s_and_not1_saveexec_b32 s0, s0
	s_cbranch_execz .LBB34_20
; %bb.19:
	v_mov_b32_e32 v9, v2
	v_lshl_add_u64 v[6:7], v[6:7], 3, v[10:11]
	s_delay_alu instid0(VALU_DEP_2) | instskip(NEXT) | instid1(VALU_DEP_1)
	v_pk_mul_f32 v[4:5], v[0:1], v[8:9] op_sel:[1,0]
	v_pk_fma_f32 v[0:1], v[2:3], v[0:1], v[4:5] op_sel_hi:[1,0,1]
	global_store_b64 v[6:7], v[0:1], off
.LBB34_20:
	s_endpgm
	.section	.rodata,"a",@progbits
	.p2align	6, 0x0
	.amdhsa_kernel _ZN9rocsparseL29gebsrmm_small_blockdim_kernelILi4ELi2ELi4ELi16E21rocsparse_complex_numIfEEEv20rocsparse_direction_20rocsparse_operation_iiNS_24const_host_device_scalarIT3_EEPKiS9_PKS6_iiSB_lS7_PS6_l21rocsparse_index_base_b
		.amdhsa_group_segment_fixed_size 640
		.amdhsa_private_segment_fixed_size 0
		.amdhsa_kernarg_size 104
		.amdhsa_user_sgpr_count 2
		.amdhsa_user_sgpr_dispatch_ptr 0
		.amdhsa_user_sgpr_queue_ptr 0
		.amdhsa_user_sgpr_kernarg_segment_ptr 1
		.amdhsa_user_sgpr_dispatch_id 0
		.amdhsa_user_sgpr_kernarg_preload_length 0
		.amdhsa_user_sgpr_kernarg_preload_offset 0
		.amdhsa_user_sgpr_private_segment_size 0
		.amdhsa_wavefront_size32 1
		.amdhsa_uses_dynamic_stack 0
		.amdhsa_enable_private_segment 0
		.amdhsa_system_sgpr_workgroup_id_x 1
		.amdhsa_system_sgpr_workgroup_id_y 1
		.amdhsa_system_sgpr_workgroup_id_z 0
		.amdhsa_system_sgpr_workgroup_info 0
		.amdhsa_system_vgpr_workitem_id 1
		.amdhsa_next_free_vgpr 28
		.amdhsa_next_free_sgpr 26
		.amdhsa_named_barrier_count 0
		.amdhsa_reserve_vcc 1
		.amdhsa_float_round_mode_32 0
		.amdhsa_float_round_mode_16_64 0
		.amdhsa_float_denorm_mode_32 3
		.amdhsa_float_denorm_mode_16_64 3
		.amdhsa_fp16_overflow 0
		.amdhsa_memory_ordered 1
		.amdhsa_forward_progress 1
		.amdhsa_inst_pref_size 9
		.amdhsa_round_robin_scheduling 0
		.amdhsa_exception_fp_ieee_invalid_op 0
		.amdhsa_exception_fp_denorm_src 0
		.amdhsa_exception_fp_ieee_div_zero 0
		.amdhsa_exception_fp_ieee_overflow 0
		.amdhsa_exception_fp_ieee_underflow 0
		.amdhsa_exception_fp_ieee_inexact 0
		.amdhsa_exception_int_div_zero 0
	.end_amdhsa_kernel
	.section	.text._ZN9rocsparseL29gebsrmm_small_blockdim_kernelILi4ELi2ELi4ELi16E21rocsparse_complex_numIfEEEv20rocsparse_direction_20rocsparse_operation_iiNS_24const_host_device_scalarIT3_EEPKiS9_PKS6_iiSB_lS7_PS6_l21rocsparse_index_base_b,"axG",@progbits,_ZN9rocsparseL29gebsrmm_small_blockdim_kernelILi4ELi2ELi4ELi16E21rocsparse_complex_numIfEEEv20rocsparse_direction_20rocsparse_operation_iiNS_24const_host_device_scalarIT3_EEPKiS9_PKS6_iiSB_lS7_PS6_l21rocsparse_index_base_b,comdat
.Lfunc_end34:
	.size	_ZN9rocsparseL29gebsrmm_small_blockdim_kernelILi4ELi2ELi4ELi16E21rocsparse_complex_numIfEEEv20rocsparse_direction_20rocsparse_operation_iiNS_24const_host_device_scalarIT3_EEPKiS9_PKS6_iiSB_lS7_PS6_l21rocsparse_index_base_b, .Lfunc_end34-_ZN9rocsparseL29gebsrmm_small_blockdim_kernelILi4ELi2ELi4ELi16E21rocsparse_complex_numIfEEEv20rocsparse_direction_20rocsparse_operation_iiNS_24const_host_device_scalarIT3_EEPKiS9_PKS6_iiSB_lS7_PS6_l21rocsparse_index_base_b
                                        ; -- End function
	.set _ZN9rocsparseL29gebsrmm_small_blockdim_kernelILi4ELi2ELi4ELi16E21rocsparse_complex_numIfEEEv20rocsparse_direction_20rocsparse_operation_iiNS_24const_host_device_scalarIT3_EEPKiS9_PKS6_iiSB_lS7_PS6_l21rocsparse_index_base_b.num_vgpr, 28
	.set _ZN9rocsparseL29gebsrmm_small_blockdim_kernelILi4ELi2ELi4ELi16E21rocsparse_complex_numIfEEEv20rocsparse_direction_20rocsparse_operation_iiNS_24const_host_device_scalarIT3_EEPKiS9_PKS6_iiSB_lS7_PS6_l21rocsparse_index_base_b.num_agpr, 0
	.set _ZN9rocsparseL29gebsrmm_small_blockdim_kernelILi4ELi2ELi4ELi16E21rocsparse_complex_numIfEEEv20rocsparse_direction_20rocsparse_operation_iiNS_24const_host_device_scalarIT3_EEPKiS9_PKS6_iiSB_lS7_PS6_l21rocsparse_index_base_b.numbered_sgpr, 26
	.set _ZN9rocsparseL29gebsrmm_small_blockdim_kernelILi4ELi2ELi4ELi16E21rocsparse_complex_numIfEEEv20rocsparse_direction_20rocsparse_operation_iiNS_24const_host_device_scalarIT3_EEPKiS9_PKS6_iiSB_lS7_PS6_l21rocsparse_index_base_b.num_named_barrier, 0
	.set _ZN9rocsparseL29gebsrmm_small_blockdim_kernelILi4ELi2ELi4ELi16E21rocsparse_complex_numIfEEEv20rocsparse_direction_20rocsparse_operation_iiNS_24const_host_device_scalarIT3_EEPKiS9_PKS6_iiSB_lS7_PS6_l21rocsparse_index_base_b.private_seg_size, 0
	.set _ZN9rocsparseL29gebsrmm_small_blockdim_kernelILi4ELi2ELi4ELi16E21rocsparse_complex_numIfEEEv20rocsparse_direction_20rocsparse_operation_iiNS_24const_host_device_scalarIT3_EEPKiS9_PKS6_iiSB_lS7_PS6_l21rocsparse_index_base_b.uses_vcc, 1
	.set _ZN9rocsparseL29gebsrmm_small_blockdim_kernelILi4ELi2ELi4ELi16E21rocsparse_complex_numIfEEEv20rocsparse_direction_20rocsparse_operation_iiNS_24const_host_device_scalarIT3_EEPKiS9_PKS6_iiSB_lS7_PS6_l21rocsparse_index_base_b.uses_flat_scratch, 1
	.set _ZN9rocsparseL29gebsrmm_small_blockdim_kernelILi4ELi2ELi4ELi16E21rocsparse_complex_numIfEEEv20rocsparse_direction_20rocsparse_operation_iiNS_24const_host_device_scalarIT3_EEPKiS9_PKS6_iiSB_lS7_PS6_l21rocsparse_index_base_b.has_dyn_sized_stack, 0
	.set _ZN9rocsparseL29gebsrmm_small_blockdim_kernelILi4ELi2ELi4ELi16E21rocsparse_complex_numIfEEEv20rocsparse_direction_20rocsparse_operation_iiNS_24const_host_device_scalarIT3_EEPKiS9_PKS6_iiSB_lS7_PS6_l21rocsparse_index_base_b.has_recursion, 0
	.set _ZN9rocsparseL29gebsrmm_small_blockdim_kernelILi4ELi2ELi4ELi16E21rocsparse_complex_numIfEEEv20rocsparse_direction_20rocsparse_operation_iiNS_24const_host_device_scalarIT3_EEPKiS9_PKS6_iiSB_lS7_PS6_l21rocsparse_index_base_b.has_indirect_call, 0
	.section	.AMDGPU.csdata,"",@progbits
; Kernel info:
; codeLenInByte = 1144
; TotalNumSgprs: 28
; NumVgprs: 28
; ScratchSize: 0
; MemoryBound: 0
; FloatMode: 240
; IeeeMode: 1
; LDSByteSize: 640 bytes/workgroup (compile time only)
; SGPRBlocks: 0
; VGPRBlocks: 1
; NumSGPRsForWavesPerEU: 28
; NumVGPRsForWavesPerEU: 28
; NamedBarCnt: 0
; Occupancy: 16
; WaveLimiterHint : 1
; COMPUTE_PGM_RSRC2:SCRATCH_EN: 0
; COMPUTE_PGM_RSRC2:USER_SGPR: 2
; COMPUTE_PGM_RSRC2:TRAP_HANDLER: 0
; COMPUTE_PGM_RSRC2:TGID_X_EN: 1
; COMPUTE_PGM_RSRC2:TGID_Y_EN: 1
; COMPUTE_PGM_RSRC2:TGID_Z_EN: 0
; COMPUTE_PGM_RSRC2:TIDIG_COMP_CNT: 1
	.section	.text._ZN9rocsparseL29gebsrmm_small_blockdim_kernelILi4ELi3ELi4ELi16E21rocsparse_complex_numIfEEEv20rocsparse_direction_20rocsparse_operation_iiNS_24const_host_device_scalarIT3_EEPKiS9_PKS6_iiSB_lS7_PS6_l21rocsparse_index_base_b,"axG",@progbits,_ZN9rocsparseL29gebsrmm_small_blockdim_kernelILi4ELi3ELi4ELi16E21rocsparse_complex_numIfEEEv20rocsparse_direction_20rocsparse_operation_iiNS_24const_host_device_scalarIT3_EEPKiS9_PKS6_iiSB_lS7_PS6_l21rocsparse_index_base_b,comdat
	.globl	_ZN9rocsparseL29gebsrmm_small_blockdim_kernelILi4ELi3ELi4ELi16E21rocsparse_complex_numIfEEEv20rocsparse_direction_20rocsparse_operation_iiNS_24const_host_device_scalarIT3_EEPKiS9_PKS6_iiSB_lS7_PS6_l21rocsparse_index_base_b ; -- Begin function _ZN9rocsparseL29gebsrmm_small_blockdim_kernelILi4ELi3ELi4ELi16E21rocsparse_complex_numIfEEEv20rocsparse_direction_20rocsparse_operation_iiNS_24const_host_device_scalarIT3_EEPKiS9_PKS6_iiSB_lS7_PS6_l21rocsparse_index_base_b
	.p2align	8
	.type	_ZN9rocsparseL29gebsrmm_small_blockdim_kernelILi4ELi3ELi4ELi16E21rocsparse_complex_numIfEEEv20rocsparse_direction_20rocsparse_operation_iiNS_24const_host_device_scalarIT3_EEPKiS9_PKS6_iiSB_lS7_PS6_l21rocsparse_index_base_b,@function
_ZN9rocsparseL29gebsrmm_small_blockdim_kernelILi4ELi3ELi4ELi16E21rocsparse_complex_numIfEEEv20rocsparse_direction_20rocsparse_operation_iiNS_24const_host_device_scalarIT3_EEPKiS9_PKS6_iiSB_lS7_PS6_l21rocsparse_index_base_b: ; @_ZN9rocsparseL29gebsrmm_small_blockdim_kernelILi4ELi3ELi4ELi16E21rocsparse_complex_numIfEEEv20rocsparse_direction_20rocsparse_operation_iiNS_24const_host_device_scalarIT3_EEPKiS9_PKS6_iiSB_lS7_PS6_l21rocsparse_index_base_b
; %bb.0:
	s_clause 0x2
	s_load_b64 s[6:7], s[0:1], 0x60
	s_load_b64 s[2:3], s[0:1], 0x10
	s_load_b128 s[8:11], s[0:1], 0x40
	v_mov_b32_e32 v1, 0
	s_add_nc_u64 s[4:5], s[0:1], 16
	s_add_nc_u64 s[12:13], s[0:1], 0x48
	s_mov_b32 s20, 0
	s_wait_kmcnt 0x0
	s_bitcmp1_b32 s7, 0
	s_cselect_b32 s3, s5, s3
	s_cselect_b32 s2, s4, s2
	;; [unrolled: 1-line block ×4, first 2 shown]
	s_clause 0x1
	flat_load_b64 v[2:3], v1, s[2:3]
	flat_load_b64 v[4:5], v1, s[4:5]
	s_wait_loadcnt_dscnt 0x101
	v_cmp_eq_f32_e32 vcc_lo, 0, v2
	v_cmp_eq_f32_e64 s3, 0, v3
	s_wait_loadcnt_dscnt 0x0
	v_cmp_eq_f32_e64 s4, 1.0, v4
	v_cmp_eq_f32_e64 s2, 0, v5
	s_and_b32 s3, vcc_lo, s3
	s_and_b32 s4, s4, s2
	s_delay_alu instid0(SALU_CYCLE_1) | instskip(NEXT) | instid1(SALU_CYCLE_1)
	s_and_b32 s3, s3, s4
	s_xor_b32 s3, s3, -1
	s_delay_alu instid0(SALU_CYCLE_1)
	s_and_saveexec_b32 s4, s3
	s_cbranch_execz .LBB35_20
; %bb.1:
	s_load_b128 s[16:19], s[0:1], 0x0
	s_bfe_u32 s3, ttmp6, 0x4000c
	s_and_b32 s4, ttmp6, 15
	s_add_co_i32 s3, s3, 1
	s_mov_b32 s7, 0
	s_mul_i32 s5, ttmp9, s3
	s_getreg_b32 s3, hwreg(HW_REG_IB_STS2, 6, 4)
	s_add_co_i32 s4, s4, s5
	s_cmp_eq_u32 s3, 0
	s_cselect_b32 s10, ttmp9, s4
	s_wait_kmcnt 0x0
	s_cmp_lt_i32 s10, s18
	s_cselect_b32 s22, -1, 0
	s_cmp_ge_i32 s10, s18
	s_cbranch_scc1 .LBB35_3
; %bb.2:
	s_load_b64 s[4:5], s[0:1], 0x18
	s_ashr_i32 s11, s10, 31
	s_delay_alu instid0(SALU_CYCLE_1)
	s_lshl_b64 s[12:13], s[10:11], 2
	s_wait_kmcnt 0x0
	s_add_nc_u64 s[4:5], s[4:5], s[12:13]
	s_load_b64 s[12:13], s[4:5], 0x0
	s_wait_kmcnt 0x0
	s_sub_co_i32 s20, s12, s6
	s_sub_co_i32 s7, s13, s6
.LBB35_3:
	s_bfe_u32 s4, ttmp6, 0x40010
	s_bfe_u32 s5, ttmp6, 0x40004
	s_add_co_i32 s4, s4, 1
	v_bfe_u32 v8, v0, 10, 10
	s_mul_i32 s4, ttmp7, s4
	v_and_b32_e32 v14, 0x3ff, v0
	s_add_co_i32 s5, s5, s4
	s_cmp_eq_u32 s3, 0
	s_cselect_b32 s3, ttmp7, s5
	s_cmp_ge_i32 s20, s7
	v_lshl_add_u32 v6, s3, 4, v8
	v_mov_b32_e32 v1, 0
	v_cmp_gt_u32_e64 s3, 4, v14
	s_delay_alu instid0(VALU_DEP_3) | instskip(SKIP_1) | instid1(VALU_DEP_4)
	v_ashrrev_i32_e32 v7, 31, v6
	v_cmp_gt_i32_e64 s4, s19, v6
	v_mov_b32_e32 v0, v1
	s_cbranch_scc1 .LBB35_15
; %bb.4:
	v_mul_u64_e32 v[10:11], s[8:9], v[6:7]
	s_clause 0x1
	s_load_b64 s[24:25], s[0:1], 0x38
	s_load_b128 s[12:15], s[0:1], 0x20
	v_cmp_lt_u32_e32 vcc_lo, 2, v14
	v_cmp_gt_u32_e64 s5, 3, v8
	s_xor_b32 s11, s4, -1
	v_lshl_add_u32 v9, v8, 2, v14
	v_mad_u32_u24 v12, v14, 3, v8
	s_or_b32 s11, s11, vcc_lo
	s_and_b32 s5, s3, s5
	s_cmp_lg_u32 s17, 0x6f
	v_dual_mov_b32 v1, 0 :: v_dual_lshlrev_b32 v0, 3, v14
	s_cselect_b32 s18, -1, 0
	s_cmp_eq_u32 s16, 0
	v_lshlrev_b32_e32 v15, 3, v9
	s_cselect_b32 vcc_lo, -1, 0
	s_ashr_i32 s21, s20, 31
	v_cndmask_b32_e32 v12, v9, v12, vcc_lo
	v_lshlrev_b32_e32 v16, 5, v8
	v_add_nc_u32_e32 v17, 0x200, v0
	v_add_nc_u32_e32 v19, 0x200, v15
	s_wait_kmcnt 0x0
	v_lshl_add_u64 v[8:9], v[6:7], 3, s[24:25]
	v_mad_u32 v18, s20, 12, v12
	v_mov_b64_e32 v[12:13], 0
	s_lshl_b64 s[16:17], s[20:21], 2
	s_delay_alu instid0(SALU_CYCLE_1) | instskip(SKIP_1) | instid1(VALU_DEP_1)
	s_add_nc_u64 s[12:13], s[12:13], s[16:17]
	v_lshl_add_u64 v[10:11], v[10:11], 3, s[24:25]
	v_add_nc_u64_e32 v[10:11], v[10:11], v[0:1]
	v_mov_b32_e32 v0, v1
	s_branch .LBB35_6
.LBB35_5:                               ;   in Loop: Header=BB35_6 Depth=1
	s_or_b32 exec_lo, exec_lo, s16
	s_wait_dscnt 0x0
	s_barrier_signal -1
	s_barrier_wait -1
	ds_load_b128 v[20:23], v16
	ds_load_2addr_b64 v[24:27], v17 offset1:4
	ds_load_b64 v[28:29], v16 offset:16
	ds_load_b64 v[30:31], v17 offset:64
	s_add_co_i32 s20, s20, 1
	s_add_nc_u64 s[12:13], s[12:13], 4
	s_cmp_ge_i32 s20, s7
	s_wait_dscnt 0x0
	s_barrier_signal -1
	s_barrier_wait -1
	v_add_nc_u32_e32 v18, 12, v18
	v_pk_fma_f32 v[0:1], v[24:25], v[20:21], v[0:1] op_sel_hi:[1,0,1]
	s_delay_alu instid0(VALU_DEP_1) | instskip(SKIP_1) | instid1(VALU_DEP_2)
	v_pk_fma_f32 v[0:1], v[24:25], v[20:21], v[0:1] op_sel:[1,1,0] op_sel_hi:[0,1,1] neg_lo:[1,0,0]
	v_mov_b32_e32 v20, v23
	v_pk_fma_f32 v[0:1], v[26:27], v[22:23], v[0:1] op_sel_hi:[1,0,1]
	s_delay_alu instid0(VALU_DEP_1) | instskip(NEXT) | instid1(VALU_DEP_1)
	v_pk_fma_f32 v[0:1], v[26:27], v[20:21], v[0:1] op_sel:[1,0,0] op_sel_hi:[0,0,1] neg_lo:[1,0,0]
	v_pk_fma_f32 v[0:1], v[30:31], v[28:29], v[0:1] op_sel_hi:[1,0,1]
	s_delay_alu instid0(VALU_DEP_1)
	v_pk_fma_f32 v[0:1], v[30:31], v[28:29], v[0:1] op_sel:[1,1,0] op_sel_hi:[0,1,1] neg_lo:[1,0,0]
	s_cbranch_scc1 .LBB35_15
.LBB35_6:                               ; =>This Inner Loop Header: Depth=1
	s_and_saveexec_b32 s16, s11
	s_delay_alu instid0(SALU_CYCLE_1)
	s_xor_b32 s16, exec_lo, s16
; %bb.7:                                ;   in Loop: Header=BB35_6 Depth=1
	ds_store_b64 v15, v[12:13]
; %bb.8:                                ;   in Loop: Header=BB35_6 Depth=1
	s_and_not1_saveexec_b32 s19, s16
	s_cbranch_execz .LBB35_13
; %bb.9:                                ;   in Loop: Header=BB35_6 Depth=1
	s_load_b32 s16, s[12:13], 0x0
	s_mov_b32 s17, -1
	s_and_b32 vcc_lo, exec_lo, s18
	s_wait_kmcnt 0x0
	s_sub_co_i32 s16, s16, s6
	s_delay_alu instid0(SALU_CYCLE_1)
	s_mul_i32 s16, s16, 3
	s_cbranch_vccz .LBB35_11
; %bb.10:                               ;   in Loop: Header=BB35_6 Depth=1
	v_add_nc_u32_e32 v20, s16, v14
	s_mov_b32 s17, 0
	s_delay_alu instid0(VALU_DEP_1) | instskip(NEXT) | instid1(VALU_DEP_1)
	v_ashrrev_i32_e32 v21, 31, v20
	v_mul_u64_e32 v[20:21], s[8:9], v[20:21]
	s_delay_alu instid0(VALU_DEP_1)
	v_lshl_add_u64 v[20:21], v[20:21], 3, v[8:9]
	global_load_b64 v[20:21], v[20:21], off
	s_wait_loadcnt 0x0
	ds_store_b64 v15, v[20:21]
.LBB35_11:                              ;   in Loop: Header=BB35_6 Depth=1
	s_and_not1_b32 vcc_lo, exec_lo, s17
	s_cbranch_vccnz .LBB35_13
; %bb.12:                               ;   in Loop: Header=BB35_6 Depth=1
	s_ashr_i32 s17, s16, 31
	s_delay_alu instid0(SALU_CYCLE_1)
	v_lshl_add_u64 v[20:21], s[16:17], 3, v[10:11]
	global_load_b64 v[20:21], v[20:21], off
	s_wait_loadcnt 0x0
	ds_store_b64 v15, v[20:21]
.LBB35_13:                              ;   in Loop: Header=BB35_6 Depth=1
	s_or_b32 exec_lo, exec_lo, s19
	s_and_saveexec_b32 s16, s5
	s_cbranch_execz .LBB35_5
; %bb.14:                               ;   in Loop: Header=BB35_6 Depth=1
	global_load_b64 v[20:21], v18, s[14:15] scale_offset
	s_wait_loadcnt 0x0
	ds_store_b64 v19, v[20:21]
	s_branch .LBB35_5
.LBB35_15:
	s_load_b64 s[6:7], s[0:1], 0x50
	s_and_b32 s4, s22, s4
	s_delay_alu instid0(SALU_CYCLE_1) | instskip(NEXT) | instid1(SALU_CYCLE_1)
	s_and_b32 s3, s4, s3
	s_and_b32 exec_lo, exec_lo, s3
	s_cbranch_execz .LBB35_20
; %bb.16:
	s_wait_xcnt 0x0
	s_load_b64 s[0:1], s[0:1], 0x58
	v_cmp_neq_f32_e32 vcc_lo, 0, v4
	s_wait_kmcnt 0x0
	v_mul_u64_e32 v[8:9], s[0:1], v[6:7]
	v_lshl_add_u32 v6, s10, 2, v14
	s_xor_b32 s0, s2, -1
	s_delay_alu instid0(SALU_CYCLE_1) | instskip(NEXT) | instid1(VALU_DEP_1)
	s_or_b32 s0, vcc_lo, s0
	v_ashrrev_i32_e32 v7, 31, v6
	s_delay_alu instid0(VALU_DEP_3) | instskip(SKIP_2) | instid1(SALU_CYCLE_1)
	v_lshl_add_u64 v[10:11], v[8:9], 3, s[6:7]
	v_xor_b32_e32 v8, 0x80000000, v3
	s_and_saveexec_b32 s1, s0
	s_xor_b32 s0, exec_lo, s1
	s_cbranch_execz .LBB35_18
; %bb.17:
	v_lshl_add_u64 v[6:7], v[6:7], 3, v[10:11]
	v_mov_b32_e32 v9, v2
	global_load_b64 v[10:11], v[6:7], off
	v_pk_mul_f32 v[8:9], v[0:1], v[8:9] op_sel:[1,0]
	s_delay_alu instid0(VALU_DEP_1) | instskip(SKIP_3) | instid1(VALU_DEP_3)
	v_pk_fma_f32 v[0:1], v[2:3], v[0:1], v[8:9] op_sel_hi:[1,0,1]
	v_xor_b32_e32 v2, 0x80000000, v5
	v_mov_b32_e32 v3, v4
                                        ; implicit-def: $vgpr8
	s_wait_loadcnt 0x0
	v_pk_fma_f32 v[0:1], v[4:5], v[10:11], v[0:1] op_sel_hi:[1,0,1]
	s_delay_alu instid0(VALU_DEP_1)
	v_pk_fma_f32 v[0:1], v[2:3], v[10:11], v[0:1] op_sel:[0,1,0]
                                        ; implicit-def: $vgpr10_vgpr11
                                        ; implicit-def: $vgpr2_vgpr3
	global_store_b64 v[6:7], v[0:1], off
                                        ; implicit-def: $vgpr6
                                        ; implicit-def: $vgpr0_vgpr1
.LBB35_18:
	s_wait_xcnt 0x0
	s_and_not1_saveexec_b32 s0, s0
	s_cbranch_execz .LBB35_20
; %bb.19:
	v_mov_b32_e32 v9, v2
	v_lshl_add_u64 v[6:7], v[6:7], 3, v[10:11]
	s_delay_alu instid0(VALU_DEP_2) | instskip(NEXT) | instid1(VALU_DEP_1)
	v_pk_mul_f32 v[4:5], v[0:1], v[8:9] op_sel:[1,0]
	v_pk_fma_f32 v[0:1], v[2:3], v[0:1], v[4:5] op_sel_hi:[1,0,1]
	global_store_b64 v[6:7], v[0:1], off
.LBB35_20:
	s_endpgm
	.section	.rodata,"a",@progbits
	.p2align	6, 0x0
	.amdhsa_kernel _ZN9rocsparseL29gebsrmm_small_blockdim_kernelILi4ELi3ELi4ELi16E21rocsparse_complex_numIfEEEv20rocsparse_direction_20rocsparse_operation_iiNS_24const_host_device_scalarIT3_EEPKiS9_PKS6_iiSB_lS7_PS6_l21rocsparse_index_base_b
		.amdhsa_group_segment_fixed_size 640
		.amdhsa_private_segment_fixed_size 0
		.amdhsa_kernarg_size 104
		.amdhsa_user_sgpr_count 2
		.amdhsa_user_sgpr_dispatch_ptr 0
		.amdhsa_user_sgpr_queue_ptr 0
		.amdhsa_user_sgpr_kernarg_segment_ptr 1
		.amdhsa_user_sgpr_dispatch_id 0
		.amdhsa_user_sgpr_kernarg_preload_length 0
		.amdhsa_user_sgpr_kernarg_preload_offset 0
		.amdhsa_user_sgpr_private_segment_size 0
		.amdhsa_wavefront_size32 1
		.amdhsa_uses_dynamic_stack 0
		.amdhsa_enable_private_segment 0
		.amdhsa_system_sgpr_workgroup_id_x 1
		.amdhsa_system_sgpr_workgroup_id_y 1
		.amdhsa_system_sgpr_workgroup_id_z 0
		.amdhsa_system_sgpr_workgroup_info 0
		.amdhsa_system_vgpr_workitem_id 1
		.amdhsa_next_free_vgpr 32
		.amdhsa_next_free_sgpr 26
		.amdhsa_named_barrier_count 0
		.amdhsa_reserve_vcc 1
		.amdhsa_float_round_mode_32 0
		.amdhsa_float_round_mode_16_64 0
		.amdhsa_float_denorm_mode_32 3
		.amdhsa_float_denorm_mode_16_64 3
		.amdhsa_fp16_overflow 0
		.amdhsa_memory_ordered 1
		.amdhsa_forward_progress 1
		.amdhsa_inst_pref_size 10
		.amdhsa_round_robin_scheduling 0
		.amdhsa_exception_fp_ieee_invalid_op 0
		.amdhsa_exception_fp_denorm_src 0
		.amdhsa_exception_fp_ieee_div_zero 0
		.amdhsa_exception_fp_ieee_overflow 0
		.amdhsa_exception_fp_ieee_underflow 0
		.amdhsa_exception_fp_ieee_inexact 0
		.amdhsa_exception_int_div_zero 0
	.end_amdhsa_kernel
	.section	.text._ZN9rocsparseL29gebsrmm_small_blockdim_kernelILi4ELi3ELi4ELi16E21rocsparse_complex_numIfEEEv20rocsparse_direction_20rocsparse_operation_iiNS_24const_host_device_scalarIT3_EEPKiS9_PKS6_iiSB_lS7_PS6_l21rocsparse_index_base_b,"axG",@progbits,_ZN9rocsparseL29gebsrmm_small_blockdim_kernelILi4ELi3ELi4ELi16E21rocsparse_complex_numIfEEEv20rocsparse_direction_20rocsparse_operation_iiNS_24const_host_device_scalarIT3_EEPKiS9_PKS6_iiSB_lS7_PS6_l21rocsparse_index_base_b,comdat
.Lfunc_end35:
	.size	_ZN9rocsparseL29gebsrmm_small_blockdim_kernelILi4ELi3ELi4ELi16E21rocsparse_complex_numIfEEEv20rocsparse_direction_20rocsparse_operation_iiNS_24const_host_device_scalarIT3_EEPKiS9_PKS6_iiSB_lS7_PS6_l21rocsparse_index_base_b, .Lfunc_end35-_ZN9rocsparseL29gebsrmm_small_blockdim_kernelILi4ELi3ELi4ELi16E21rocsparse_complex_numIfEEEv20rocsparse_direction_20rocsparse_operation_iiNS_24const_host_device_scalarIT3_EEPKiS9_PKS6_iiSB_lS7_PS6_l21rocsparse_index_base_b
                                        ; -- End function
	.set _ZN9rocsparseL29gebsrmm_small_blockdim_kernelILi4ELi3ELi4ELi16E21rocsparse_complex_numIfEEEv20rocsparse_direction_20rocsparse_operation_iiNS_24const_host_device_scalarIT3_EEPKiS9_PKS6_iiSB_lS7_PS6_l21rocsparse_index_base_b.num_vgpr, 32
	.set _ZN9rocsparseL29gebsrmm_small_blockdim_kernelILi4ELi3ELi4ELi16E21rocsparse_complex_numIfEEEv20rocsparse_direction_20rocsparse_operation_iiNS_24const_host_device_scalarIT3_EEPKiS9_PKS6_iiSB_lS7_PS6_l21rocsparse_index_base_b.num_agpr, 0
	.set _ZN9rocsparseL29gebsrmm_small_blockdim_kernelILi4ELi3ELi4ELi16E21rocsparse_complex_numIfEEEv20rocsparse_direction_20rocsparse_operation_iiNS_24const_host_device_scalarIT3_EEPKiS9_PKS6_iiSB_lS7_PS6_l21rocsparse_index_base_b.numbered_sgpr, 26
	.set _ZN9rocsparseL29gebsrmm_small_blockdim_kernelILi4ELi3ELi4ELi16E21rocsparse_complex_numIfEEEv20rocsparse_direction_20rocsparse_operation_iiNS_24const_host_device_scalarIT3_EEPKiS9_PKS6_iiSB_lS7_PS6_l21rocsparse_index_base_b.num_named_barrier, 0
	.set _ZN9rocsparseL29gebsrmm_small_blockdim_kernelILi4ELi3ELi4ELi16E21rocsparse_complex_numIfEEEv20rocsparse_direction_20rocsparse_operation_iiNS_24const_host_device_scalarIT3_EEPKiS9_PKS6_iiSB_lS7_PS6_l21rocsparse_index_base_b.private_seg_size, 0
	.set _ZN9rocsparseL29gebsrmm_small_blockdim_kernelILi4ELi3ELi4ELi16E21rocsparse_complex_numIfEEEv20rocsparse_direction_20rocsparse_operation_iiNS_24const_host_device_scalarIT3_EEPKiS9_PKS6_iiSB_lS7_PS6_l21rocsparse_index_base_b.uses_vcc, 1
	.set _ZN9rocsparseL29gebsrmm_small_blockdim_kernelILi4ELi3ELi4ELi16E21rocsparse_complex_numIfEEEv20rocsparse_direction_20rocsparse_operation_iiNS_24const_host_device_scalarIT3_EEPKiS9_PKS6_iiSB_lS7_PS6_l21rocsparse_index_base_b.uses_flat_scratch, 1
	.set _ZN9rocsparseL29gebsrmm_small_blockdim_kernelILi4ELi3ELi4ELi16E21rocsparse_complex_numIfEEEv20rocsparse_direction_20rocsparse_operation_iiNS_24const_host_device_scalarIT3_EEPKiS9_PKS6_iiSB_lS7_PS6_l21rocsparse_index_base_b.has_dyn_sized_stack, 0
	.set _ZN9rocsparseL29gebsrmm_small_blockdim_kernelILi4ELi3ELi4ELi16E21rocsparse_complex_numIfEEEv20rocsparse_direction_20rocsparse_operation_iiNS_24const_host_device_scalarIT3_EEPKiS9_PKS6_iiSB_lS7_PS6_l21rocsparse_index_base_b.has_recursion, 0
	.set _ZN9rocsparseL29gebsrmm_small_blockdim_kernelILi4ELi3ELi4ELi16E21rocsparse_complex_numIfEEEv20rocsparse_direction_20rocsparse_operation_iiNS_24const_host_device_scalarIT3_EEPKiS9_PKS6_iiSB_lS7_PS6_l21rocsparse_index_base_b.has_indirect_call, 0
	.section	.AMDGPU.csdata,"",@progbits
; Kernel info:
; codeLenInByte = 1176
; TotalNumSgprs: 28
; NumVgprs: 32
; ScratchSize: 0
; MemoryBound: 0
; FloatMode: 240
; IeeeMode: 1
; LDSByteSize: 640 bytes/workgroup (compile time only)
; SGPRBlocks: 0
; VGPRBlocks: 1
; NumSGPRsForWavesPerEU: 28
; NumVGPRsForWavesPerEU: 32
; NamedBarCnt: 0
; Occupancy: 16
; WaveLimiterHint : 1
; COMPUTE_PGM_RSRC2:SCRATCH_EN: 0
; COMPUTE_PGM_RSRC2:USER_SGPR: 2
; COMPUTE_PGM_RSRC2:TRAP_HANDLER: 0
; COMPUTE_PGM_RSRC2:TGID_X_EN: 1
; COMPUTE_PGM_RSRC2:TGID_Y_EN: 1
; COMPUTE_PGM_RSRC2:TGID_Z_EN: 0
; COMPUTE_PGM_RSRC2:TIDIG_COMP_CNT: 1
	.section	.text._ZN9rocsparseL29gebsrmm_small_blockdim_kernelILi1ELi2ELi2ELi16E21rocsparse_complex_numIdEEEv20rocsparse_direction_20rocsparse_operation_iiNS_24const_host_device_scalarIT3_EEPKiS9_PKS6_iiSB_lS7_PS6_l21rocsparse_index_base_b,"axG",@progbits,_ZN9rocsparseL29gebsrmm_small_blockdim_kernelILi1ELi2ELi2ELi16E21rocsparse_complex_numIdEEEv20rocsparse_direction_20rocsparse_operation_iiNS_24const_host_device_scalarIT3_EEPKiS9_PKS6_iiSB_lS7_PS6_l21rocsparse_index_base_b,comdat
	.globl	_ZN9rocsparseL29gebsrmm_small_blockdim_kernelILi1ELi2ELi2ELi16E21rocsparse_complex_numIdEEEv20rocsparse_direction_20rocsparse_operation_iiNS_24const_host_device_scalarIT3_EEPKiS9_PKS6_iiSB_lS7_PS6_l21rocsparse_index_base_b ; -- Begin function _ZN9rocsparseL29gebsrmm_small_blockdim_kernelILi1ELi2ELi2ELi16E21rocsparse_complex_numIdEEEv20rocsparse_direction_20rocsparse_operation_iiNS_24const_host_device_scalarIT3_EEPKiS9_PKS6_iiSB_lS7_PS6_l21rocsparse_index_base_b
	.p2align	8
	.type	_ZN9rocsparseL29gebsrmm_small_blockdim_kernelILi1ELi2ELi2ELi16E21rocsparse_complex_numIdEEEv20rocsparse_direction_20rocsparse_operation_iiNS_24const_host_device_scalarIT3_EEPKiS9_PKS6_iiSB_lS7_PS6_l21rocsparse_index_base_b,@function
_ZN9rocsparseL29gebsrmm_small_blockdim_kernelILi1ELi2ELi2ELi16E21rocsparse_complex_numIdEEEv20rocsparse_direction_20rocsparse_operation_iiNS_24const_host_device_scalarIT3_EEPKiS9_PKS6_iiSB_lS7_PS6_l21rocsparse_index_base_b: ; @_ZN9rocsparseL29gebsrmm_small_blockdim_kernelILi1ELi2ELi2ELi16E21rocsparse_complex_numIdEEEv20rocsparse_direction_20rocsparse_operation_iiNS_24const_host_device_scalarIT3_EEPKiS9_PKS6_iiSB_lS7_PS6_l21rocsparse_index_base_b
; %bb.0:
	s_clause 0x1
	s_load_b64 s[6:7], s[0:1], 0x70
	s_load_b64 s[2:3], s[0:1], 0x10
	v_mov_b32_e32 v1, 0
	s_add_nc_u64 s[4:5], s[0:1], 16
	s_load_b128 s[8:11], s[0:1], 0x48
	s_wait_kmcnt 0x0
	s_bitcmp1_b32 s7, 0
	s_cselect_b32 s3, s5, s3
	s_cselect_b32 s2, s4, s2
	flat_load_b128 v[6:9], v1, s[2:3]
	s_wait_xcnt 0x0
	s_add_nc_u64 s[2:3], s[0:1], 0x50
	s_delay_alu instid0(SALU_CYCLE_1)
	s_cselect_b32 s3, s3, s11
	s_cselect_b32 s2, s2, s10
	flat_load_b128 v[2:5], v1, s[2:3]
	s_wait_loadcnt_dscnt 0x101
	v_cmp_eq_f64_e32 vcc_lo, 0, v[6:7]
	s_wait_xcnt 0x0
	v_cmp_eq_f64_e64 s2, 0, v[8:9]
	s_and_b32 s4, vcc_lo, s2
	s_mov_b32 s2, -1
	s_and_saveexec_b32 s3, s4
	s_cbranch_execz .LBB36_2
; %bb.1:
	s_wait_loadcnt_dscnt 0x0
	v_cmp_neq_f64_e32 vcc_lo, 1.0, v[2:3]
	v_cmp_neq_f64_e64 s2, 0, v[4:5]
	s_or_b32 s2, vcc_lo, s2
	s_delay_alu instid0(SALU_CYCLE_1)
	s_or_not1_b32 s2, s2, exec_lo
.LBB36_2:
	s_or_b32 exec_lo, exec_lo, s3
	s_and_saveexec_b32 s3, s2
	s_cbranch_execz .LBB36_22
; %bb.3:
	s_load_b96 s[16:18], s[0:1], 0x4
	s_bfe_u32 s2, ttmp6, 0x4000c
	s_and_b32 s3, ttmp6, 15
	s_add_co_i32 s2, s2, 1
	s_mov_b32 s20, 0
	s_mul_i32 s4, ttmp9, s2
	s_getreg_b32 s2, hwreg(HW_REG_IB_STS2, 6, 4)
	s_add_co_i32 s3, s3, s4
	s_cmp_eq_u32 s2, 0
	s_mov_b32 s11, 0
	s_cselect_b32 s10, ttmp9, s3
	s_wait_kmcnt 0x0
	s_cmp_lt_i32 s10, s17
	s_cselect_b32 s7, -1, 0
	s_cmp_ge_i32 s10, s17
	s_cbranch_scc1 .LBB36_5
; %bb.4:
	s_load_b64 s[4:5], s[0:1], 0x20
	s_ashr_i32 s11, s10, 31
	s_delay_alu instid0(SALU_CYCLE_1)
	s_lshl_b64 s[12:13], s[10:11], 2
	s_wait_kmcnt 0x0
	s_add_nc_u64 s[4:5], s[4:5], s[12:13]
	s_load_b64 s[12:13], s[4:5], 0x0
	s_wait_kmcnt 0x0
	s_sub_co_i32 s20, s12, s6
	s_sub_co_i32 s11, s13, s6
.LBB36_5:
	s_bfe_u32 s3, ttmp6, 0x40010
	s_bfe_u32 s4, ttmp6, 0x40004
	s_add_co_i32 s3, s3, 1
	v_bfe_u32 v11, v0, 10, 10
	s_mul_i32 s3, ttmp7, s3
	v_and_b32_e32 v22, 0x3ff, v0
	s_add_co_i32 s4, s4, s3
	s_cmp_eq_u32 s2, 0
	v_mov_b64_e32 v[0:1], 0
	s_cselect_b32 s2, ttmp7, s4
	v_mov_b64_e32 v[16:17], 0
	v_lshl_add_u32 v14, s2, 4, v11
	v_cmp_eq_u32_e64 s3, 0, v22
	s_cmp_ge_i32 s20, s11
	v_ashrrev_i32_e32 v15, 31, v14
	v_cmp_gt_i32_e64 s2, s18, v14
	s_cbranch_scc1 .LBB36_17
; %bb.6:
	v_mul_u64_e32 v[12:13], s[8:9], v[14:15]
	s_clause 0x1
	s_load_b64 s[22:23], s[0:1], 0x40
	s_load_b128 s[12:15], s[0:1], 0x28
	v_dual_lshlrev_b32 v17, 1, v11 :: v_dual_lshlrev_b32 v16, 4, v22
	v_dual_mov_b32 v10, 0 :: v_dual_lshlrev_b32 v23, 5, v11
	v_cmp_lt_u32_e32 vcc_lo, 1, v22
	v_cmp_gt_u32_e64 s4, 2, v11
	s_delay_alu instid0(VALU_DEP_4) | instskip(NEXT) | instid1(VALU_DEP_4)
	v_add_lshl_u32 v24, v17, v22, 4
	v_mov_b32_e32 v17, v10
	s_xor_b32 s5, s2, -1
	v_mov_b64_e32 v[0:1], 0
	s_or_b32 s17, s5, vcc_lo
	s_and_b32 s18, s3, s4
	s_cmp_lg_u32 s16, 0x6f
	v_add_nc_u32_e32 v25, 0x200, v16
	v_add_nc_u32_e32 v26, 0x200, v24
	s_cselect_b32 s16, -1, 0
	s_ashr_i32 s21, s20, 31
	v_lshl_add_u32 v27, s20, 1, v11
	s_wait_kmcnt 0x0
	v_lshl_add_u64 v[18:19], v[14:15], 4, s[22:23]
	s_lshl_b64 s[4:5], s[20:21], 2
	s_delay_alu instid0(SALU_CYCLE_1) | instskip(SKIP_1) | instid1(VALU_DEP_1)
	s_add_nc_u64 s[4:5], s[12:13], s[4:5]
	v_lshl_add_u64 v[12:13], v[12:13], 4, s[22:23]
	v_add_nc_u64_e32 v[20:21], v[12:13], v[16:17]
	v_mov_b64_e32 v[16:17], 0
	s_branch .LBB36_8
.LBB36_7:                               ;   in Loop: Header=BB36_8 Depth=1
	s_or_b32 exec_lo, exec_lo, s12
	; wave barrier
	s_wait_loadcnt_dscnt 0x0
	ds_load_b128 v[28:31], v23
	ds_load_b128 v[32:35], v25
	ds_load_b128 v[36:39], v25 offset:32
	ds_load_b128 v[40:43], v23 offset:16
	v_add_nc_u32_e32 v27, 2, v27
	s_add_co_i32 s20, s20, 1
	s_add_nc_u64 s[4:5], s[4:5], 4
	s_cmp_ge_i32 s20, s11
	s_wait_dscnt 0x0
	; wave barrier
	v_fmac_f64_e32 v[16:17], v[32:33], v[28:29]
	v_fmac_f64_e32 v[0:1], v[34:35], v[28:29]
	s_delay_alu instid0(VALU_DEP_2) | instskip(NEXT) | instid1(VALU_DEP_2)
	v_fma_f64 v[12:13], -v[34:35], v[30:31], v[16:17]
	v_fmac_f64_e32 v[0:1], v[32:33], v[30:31]
	s_delay_alu instid0(VALU_DEP_2) | instskip(NEXT) | instid1(VALU_DEP_2)
	v_fmac_f64_e32 v[12:13], v[36:37], v[40:41]
	v_fmac_f64_e32 v[0:1], v[38:39], v[40:41]
	s_delay_alu instid0(VALU_DEP_2) | instskip(NEXT) | instid1(VALU_DEP_2)
	v_fma_f64 v[16:17], -v[38:39], v[42:43], v[12:13]
	v_fmac_f64_e32 v[0:1], v[36:37], v[42:43]
	s_cbranch_scc1 .LBB36_17
.LBB36_8:                               ; =>This Inner Loop Header: Depth=1
	s_and_saveexec_b32 s12, s17
	s_delay_alu instid0(SALU_CYCLE_1)
	s_xor_b32 s12, exec_lo, s12
; %bb.9:                                ;   in Loop: Header=BB36_8 Depth=1
	v_dual_mov_b32 v11, v10 :: v_dual_mov_b32 v12, v10
	v_mov_b32_e32 v13, v10
	ds_store_b128 v24, v[10:13]
; %bb.10:                               ;   in Loop: Header=BB36_8 Depth=1
	s_and_not1_saveexec_b32 s19, s12
	s_cbranch_execz .LBB36_15
; %bb.11:                               ;   in Loop: Header=BB36_8 Depth=1
	s_load_b32 s12, s[4:5], 0x0
	s_mov_b32 s13, -1
	s_and_b32 vcc_lo, exec_lo, s16
	s_wait_kmcnt 0x0
	s_sub_co_i32 s12, s12, s6
	s_delay_alu instid0(SALU_CYCLE_1)
	s_lshl_b32 s12, s12, 1
	s_cbranch_vccz .LBB36_13
; %bb.12:                               ;   in Loop: Header=BB36_8 Depth=1
	v_or_b32_e32 v12, s12, v22
	s_mov_b32 s13, 0
	s_delay_alu instid0(VALU_DEP_1) | instskip(NEXT) | instid1(VALU_DEP_1)
	v_ashrrev_i32_e32 v13, 31, v12
	v_mul_u64_e32 v[12:13], s[8:9], v[12:13]
	s_delay_alu instid0(VALU_DEP_1)
	v_lshl_add_u64 v[12:13], v[12:13], 4, v[18:19]
	global_load_b128 v[28:31], v[12:13], off
	s_wait_loadcnt 0x0
	ds_store_2addr_b64 v24, v[28:29], v[30:31] offset1:1
.LBB36_13:                              ;   in Loop: Header=BB36_8 Depth=1
	s_and_not1_b32 vcc_lo, exec_lo, s13
	s_cbranch_vccnz .LBB36_15
; %bb.14:                               ;   in Loop: Header=BB36_8 Depth=1
	s_ashr_i32 s13, s12, 31
	s_delay_alu instid0(SALU_CYCLE_1)
	v_lshl_add_u64 v[12:13], s[12:13], 4, v[20:21]
	global_load_b128 v[28:31], v[12:13], off
	s_wait_loadcnt 0x0
	ds_store_2addr_b64 v24, v[28:29], v[30:31] offset1:1
.LBB36_15:                              ;   in Loop: Header=BB36_8 Depth=1
	s_or_b32 exec_lo, exec_lo, s19
	s_and_saveexec_b32 s12, s18
	s_cbranch_execz .LBB36_7
; %bb.16:                               ;   in Loop: Header=BB36_8 Depth=1
	global_load_b128 v[28:31], v27, s[14:15] scale_offset
	s_wait_loadcnt 0x0
	ds_store_2addr_b64 v26, v[28:29], v[30:31] offset1:1
	s_branch .LBB36_7
.LBB36_17:
	s_load_b64 s[4:5], s[0:1], 0x60
	s_and_b32 s2, s3, s2
	s_delay_alu instid0(SALU_CYCLE_1) | instskip(NEXT) | instid1(SALU_CYCLE_1)
	s_and_b32 s2, s7, s2
	s_and_b32 exec_lo, exec_lo, s2
	s_cbranch_execz .LBB36_22
; %bb.18:
	s_delay_alu instid0(VALU_DEP_1)
	v_mul_f64_e64 v[10:11], v[0:1], -v[8:9]
	v_mul_f64_e32 v[12:13], v[6:7], v[0:1]
	s_wait_xcnt 0x0
	s_load_b64 s[0:1], s[0:1], 0x68
	s_wait_loadcnt_dscnt 0x0
	v_cmp_neq_f64_e32 vcc_lo, 0, v[2:3]
	v_add_nc_u32_e32 v0, s10, v22
	s_delay_alu instid0(VALU_DEP_1)
	v_ashrrev_i32_e32 v1, 31, v0
	s_wait_kmcnt 0x0
	v_mul_u64_e32 v[14:15], s[0:1], v[14:15]
	v_cmp_neq_f64_e64 s0, 0, v[4:5]
	v_fmac_f64_e32 v[10:11], v[6:7], v[16:17]
	v_fmac_f64_e32 v[12:13], v[8:9], v[16:17]
	s_delay_alu instid0(VALU_DEP_4) | instskip(SKIP_1) | instid1(SALU_CYCLE_1)
	v_lshl_add_u64 v[6:7], v[14:15], 4, s[4:5]
	s_or_b32 s0, vcc_lo, s0
	s_and_saveexec_b32 s1, s0
	s_delay_alu instid0(SALU_CYCLE_1)
	s_xor_b32 s0, exec_lo, s1
	s_cbranch_execz .LBB36_20
; %bb.19:
	v_lshl_add_u64 v[0:1], v[0:1], 4, v[6:7]
	global_load_b128 v[6:9], v[0:1], off
	s_wait_loadcnt 0x0
	v_fmac_f64_e32 v[10:11], v[2:3], v[6:7]
	v_fmac_f64_e32 v[12:13], v[4:5], v[6:7]
                                        ; implicit-def: $vgpr6_vgpr7
	s_delay_alu instid0(VALU_DEP_2) | instskip(NEXT) | instid1(VALU_DEP_2)
	v_fma_f64 v[10:11], -v[4:5], v[8:9], v[10:11]
	v_fmac_f64_e32 v[12:13], v[2:3], v[8:9]
	global_store_b128 v[0:1], v[10:13], off
                                        ; implicit-def: $vgpr0
                                        ; implicit-def: $vgpr10_vgpr11
.LBB36_20:
	s_wait_xcnt 0x0
	s_and_not1_saveexec_b32 s0, s0
	s_cbranch_execz .LBB36_22
; %bb.21:
	v_lshl_add_u64 v[0:1], v[0:1], 4, v[6:7]
	global_store_b128 v[0:1], v[10:13], off
.LBB36_22:
	s_endpgm
	.section	.rodata,"a",@progbits
	.p2align	6, 0x0
	.amdhsa_kernel _ZN9rocsparseL29gebsrmm_small_blockdim_kernelILi1ELi2ELi2ELi16E21rocsparse_complex_numIdEEEv20rocsparse_direction_20rocsparse_operation_iiNS_24const_host_device_scalarIT3_EEPKiS9_PKS6_iiSB_lS7_PS6_l21rocsparse_index_base_b
		.amdhsa_group_segment_fixed_size 576
		.amdhsa_private_segment_fixed_size 0
		.amdhsa_kernarg_size 120
		.amdhsa_user_sgpr_count 2
		.amdhsa_user_sgpr_dispatch_ptr 0
		.amdhsa_user_sgpr_queue_ptr 0
		.amdhsa_user_sgpr_kernarg_segment_ptr 1
		.amdhsa_user_sgpr_dispatch_id 0
		.amdhsa_user_sgpr_kernarg_preload_length 0
		.amdhsa_user_sgpr_kernarg_preload_offset 0
		.amdhsa_user_sgpr_private_segment_size 0
		.amdhsa_wavefront_size32 1
		.amdhsa_uses_dynamic_stack 0
		.amdhsa_enable_private_segment 0
		.amdhsa_system_sgpr_workgroup_id_x 1
		.amdhsa_system_sgpr_workgroup_id_y 1
		.amdhsa_system_sgpr_workgroup_id_z 0
		.amdhsa_system_sgpr_workgroup_info 0
		.amdhsa_system_vgpr_workitem_id 1
		.amdhsa_next_free_vgpr 44
		.amdhsa_next_free_sgpr 24
		.amdhsa_named_barrier_count 0
		.amdhsa_reserve_vcc 1
		.amdhsa_float_round_mode_32 0
		.amdhsa_float_round_mode_16_64 0
		.amdhsa_float_denorm_mode_32 3
		.amdhsa_float_denorm_mode_16_64 3
		.amdhsa_fp16_overflow 0
		.amdhsa_memory_ordered 1
		.amdhsa_forward_progress 1
		.amdhsa_inst_pref_size 9
		.amdhsa_round_robin_scheduling 0
		.amdhsa_exception_fp_ieee_invalid_op 0
		.amdhsa_exception_fp_denorm_src 0
		.amdhsa_exception_fp_ieee_div_zero 0
		.amdhsa_exception_fp_ieee_overflow 0
		.amdhsa_exception_fp_ieee_underflow 0
		.amdhsa_exception_fp_ieee_inexact 0
		.amdhsa_exception_int_div_zero 0
	.end_amdhsa_kernel
	.section	.text._ZN9rocsparseL29gebsrmm_small_blockdim_kernelILi1ELi2ELi2ELi16E21rocsparse_complex_numIdEEEv20rocsparse_direction_20rocsparse_operation_iiNS_24const_host_device_scalarIT3_EEPKiS9_PKS6_iiSB_lS7_PS6_l21rocsparse_index_base_b,"axG",@progbits,_ZN9rocsparseL29gebsrmm_small_blockdim_kernelILi1ELi2ELi2ELi16E21rocsparse_complex_numIdEEEv20rocsparse_direction_20rocsparse_operation_iiNS_24const_host_device_scalarIT3_EEPKiS9_PKS6_iiSB_lS7_PS6_l21rocsparse_index_base_b,comdat
.Lfunc_end36:
	.size	_ZN9rocsparseL29gebsrmm_small_blockdim_kernelILi1ELi2ELi2ELi16E21rocsparse_complex_numIdEEEv20rocsparse_direction_20rocsparse_operation_iiNS_24const_host_device_scalarIT3_EEPKiS9_PKS6_iiSB_lS7_PS6_l21rocsparse_index_base_b, .Lfunc_end36-_ZN9rocsparseL29gebsrmm_small_blockdim_kernelILi1ELi2ELi2ELi16E21rocsparse_complex_numIdEEEv20rocsparse_direction_20rocsparse_operation_iiNS_24const_host_device_scalarIT3_EEPKiS9_PKS6_iiSB_lS7_PS6_l21rocsparse_index_base_b
                                        ; -- End function
	.set _ZN9rocsparseL29gebsrmm_small_blockdim_kernelILi1ELi2ELi2ELi16E21rocsparse_complex_numIdEEEv20rocsparse_direction_20rocsparse_operation_iiNS_24const_host_device_scalarIT3_EEPKiS9_PKS6_iiSB_lS7_PS6_l21rocsparse_index_base_b.num_vgpr, 44
	.set _ZN9rocsparseL29gebsrmm_small_blockdim_kernelILi1ELi2ELi2ELi16E21rocsparse_complex_numIdEEEv20rocsparse_direction_20rocsparse_operation_iiNS_24const_host_device_scalarIT3_EEPKiS9_PKS6_iiSB_lS7_PS6_l21rocsparse_index_base_b.num_agpr, 0
	.set _ZN9rocsparseL29gebsrmm_small_blockdim_kernelILi1ELi2ELi2ELi16E21rocsparse_complex_numIdEEEv20rocsparse_direction_20rocsparse_operation_iiNS_24const_host_device_scalarIT3_EEPKiS9_PKS6_iiSB_lS7_PS6_l21rocsparse_index_base_b.numbered_sgpr, 24
	.set _ZN9rocsparseL29gebsrmm_small_blockdim_kernelILi1ELi2ELi2ELi16E21rocsparse_complex_numIdEEEv20rocsparse_direction_20rocsparse_operation_iiNS_24const_host_device_scalarIT3_EEPKiS9_PKS6_iiSB_lS7_PS6_l21rocsparse_index_base_b.num_named_barrier, 0
	.set _ZN9rocsparseL29gebsrmm_small_blockdim_kernelILi1ELi2ELi2ELi16E21rocsparse_complex_numIdEEEv20rocsparse_direction_20rocsparse_operation_iiNS_24const_host_device_scalarIT3_EEPKiS9_PKS6_iiSB_lS7_PS6_l21rocsparse_index_base_b.private_seg_size, 0
	.set _ZN9rocsparseL29gebsrmm_small_blockdim_kernelILi1ELi2ELi2ELi16E21rocsparse_complex_numIdEEEv20rocsparse_direction_20rocsparse_operation_iiNS_24const_host_device_scalarIT3_EEPKiS9_PKS6_iiSB_lS7_PS6_l21rocsparse_index_base_b.uses_vcc, 1
	.set _ZN9rocsparseL29gebsrmm_small_blockdim_kernelILi1ELi2ELi2ELi16E21rocsparse_complex_numIdEEEv20rocsparse_direction_20rocsparse_operation_iiNS_24const_host_device_scalarIT3_EEPKiS9_PKS6_iiSB_lS7_PS6_l21rocsparse_index_base_b.uses_flat_scratch, 0
	.set _ZN9rocsparseL29gebsrmm_small_blockdim_kernelILi1ELi2ELi2ELi16E21rocsparse_complex_numIdEEEv20rocsparse_direction_20rocsparse_operation_iiNS_24const_host_device_scalarIT3_EEPKiS9_PKS6_iiSB_lS7_PS6_l21rocsparse_index_base_b.has_dyn_sized_stack, 0
	.set _ZN9rocsparseL29gebsrmm_small_blockdim_kernelILi1ELi2ELi2ELi16E21rocsparse_complex_numIdEEEv20rocsparse_direction_20rocsparse_operation_iiNS_24const_host_device_scalarIT3_EEPKiS9_PKS6_iiSB_lS7_PS6_l21rocsparse_index_base_b.has_recursion, 0
	.set _ZN9rocsparseL29gebsrmm_small_blockdim_kernelILi1ELi2ELi2ELi16E21rocsparse_complex_numIdEEEv20rocsparse_direction_20rocsparse_operation_iiNS_24const_host_device_scalarIT3_EEPKiS9_PKS6_iiSB_lS7_PS6_l21rocsparse_index_base_b.has_indirect_call, 0
	.section	.AMDGPU.csdata,"",@progbits
; Kernel info:
; codeLenInByte = 1128
; TotalNumSgprs: 26
; NumVgprs: 44
; ScratchSize: 0
; MemoryBound: 0
; FloatMode: 240
; IeeeMode: 1
; LDSByteSize: 576 bytes/workgroup (compile time only)
; SGPRBlocks: 0
; VGPRBlocks: 2
; NumSGPRsForWavesPerEU: 26
; NumVGPRsForWavesPerEU: 44
; NamedBarCnt: 0
; Occupancy: 16
; WaveLimiterHint : 0
; COMPUTE_PGM_RSRC2:SCRATCH_EN: 0
; COMPUTE_PGM_RSRC2:USER_SGPR: 2
; COMPUTE_PGM_RSRC2:TRAP_HANDLER: 0
; COMPUTE_PGM_RSRC2:TGID_X_EN: 1
; COMPUTE_PGM_RSRC2:TGID_Y_EN: 1
; COMPUTE_PGM_RSRC2:TGID_Z_EN: 0
; COMPUTE_PGM_RSRC2:TIDIG_COMP_CNT: 1
	.section	.text._ZN9rocsparseL29gebsrmm_small_blockdim_kernelILi1ELi3ELi3ELi16E21rocsparse_complex_numIdEEEv20rocsparse_direction_20rocsparse_operation_iiNS_24const_host_device_scalarIT3_EEPKiS9_PKS6_iiSB_lS7_PS6_l21rocsparse_index_base_b,"axG",@progbits,_ZN9rocsparseL29gebsrmm_small_blockdim_kernelILi1ELi3ELi3ELi16E21rocsparse_complex_numIdEEEv20rocsparse_direction_20rocsparse_operation_iiNS_24const_host_device_scalarIT3_EEPKiS9_PKS6_iiSB_lS7_PS6_l21rocsparse_index_base_b,comdat
	.globl	_ZN9rocsparseL29gebsrmm_small_blockdim_kernelILi1ELi3ELi3ELi16E21rocsparse_complex_numIdEEEv20rocsparse_direction_20rocsparse_operation_iiNS_24const_host_device_scalarIT3_EEPKiS9_PKS6_iiSB_lS7_PS6_l21rocsparse_index_base_b ; -- Begin function _ZN9rocsparseL29gebsrmm_small_blockdim_kernelILi1ELi3ELi3ELi16E21rocsparse_complex_numIdEEEv20rocsparse_direction_20rocsparse_operation_iiNS_24const_host_device_scalarIT3_EEPKiS9_PKS6_iiSB_lS7_PS6_l21rocsparse_index_base_b
	.p2align	8
	.type	_ZN9rocsparseL29gebsrmm_small_blockdim_kernelILi1ELi3ELi3ELi16E21rocsparse_complex_numIdEEEv20rocsparse_direction_20rocsparse_operation_iiNS_24const_host_device_scalarIT3_EEPKiS9_PKS6_iiSB_lS7_PS6_l21rocsparse_index_base_b,@function
_ZN9rocsparseL29gebsrmm_small_blockdim_kernelILi1ELi3ELi3ELi16E21rocsparse_complex_numIdEEEv20rocsparse_direction_20rocsparse_operation_iiNS_24const_host_device_scalarIT3_EEPKiS9_PKS6_iiSB_lS7_PS6_l21rocsparse_index_base_b: ; @_ZN9rocsparseL29gebsrmm_small_blockdim_kernelILi1ELi3ELi3ELi16E21rocsparse_complex_numIdEEEv20rocsparse_direction_20rocsparse_operation_iiNS_24const_host_device_scalarIT3_EEPKiS9_PKS6_iiSB_lS7_PS6_l21rocsparse_index_base_b
; %bb.0:
	s_clause 0x1
	s_load_b64 s[6:7], s[0:1], 0x70
	s_load_b64 s[2:3], s[0:1], 0x10
	v_mov_b32_e32 v1, 0
	s_add_nc_u64 s[4:5], s[0:1], 16
	s_load_b128 s[8:11], s[0:1], 0x48
	s_wait_kmcnt 0x0
	s_bitcmp1_b32 s7, 0
	s_cselect_b32 s3, s5, s3
	s_cselect_b32 s2, s4, s2
	flat_load_b128 v[6:9], v1, s[2:3]
	s_wait_xcnt 0x0
	s_add_nc_u64 s[2:3], s[0:1], 0x50
	s_delay_alu instid0(SALU_CYCLE_1)
	s_cselect_b32 s3, s3, s11
	s_cselect_b32 s2, s2, s10
	flat_load_b128 v[2:5], v1, s[2:3]
	s_wait_loadcnt_dscnt 0x101
	v_cmp_eq_f64_e32 vcc_lo, 0, v[6:7]
	s_wait_xcnt 0x0
	v_cmp_eq_f64_e64 s2, 0, v[8:9]
	s_and_b32 s4, vcc_lo, s2
	s_mov_b32 s2, -1
	s_and_saveexec_b32 s3, s4
	s_cbranch_execz .LBB37_2
; %bb.1:
	s_wait_loadcnt_dscnt 0x0
	v_cmp_neq_f64_e32 vcc_lo, 1.0, v[2:3]
	v_cmp_neq_f64_e64 s2, 0, v[4:5]
	s_or_b32 s2, vcc_lo, s2
	s_delay_alu instid0(SALU_CYCLE_1)
	s_or_not1_b32 s2, s2, exec_lo
.LBB37_2:
	s_or_b32 exec_lo, exec_lo, s3
	s_and_saveexec_b32 s3, s2
	s_cbranch_execz .LBB37_22
; %bb.3:
	s_load_b96 s[16:18], s[0:1], 0x4
	s_bfe_u32 s2, ttmp6, 0x4000c
	s_and_b32 s3, ttmp6, 15
	s_add_co_i32 s2, s2, 1
	s_mov_b32 s20, 0
	s_mul_i32 s4, ttmp9, s2
	s_getreg_b32 s2, hwreg(HW_REG_IB_STS2, 6, 4)
	s_add_co_i32 s3, s3, s4
	s_cmp_eq_u32 s2, 0
	s_mov_b32 s11, 0
	s_cselect_b32 s10, ttmp9, s3
	s_wait_kmcnt 0x0
	s_cmp_lt_i32 s10, s17
	s_cselect_b32 s7, -1, 0
	s_cmp_ge_i32 s10, s17
	s_cbranch_scc1 .LBB37_5
; %bb.4:
	s_load_b64 s[4:5], s[0:1], 0x20
	s_ashr_i32 s11, s10, 31
	s_delay_alu instid0(SALU_CYCLE_1)
	s_lshl_b64 s[12:13], s[10:11], 2
	s_wait_kmcnt 0x0
	s_add_nc_u64 s[4:5], s[4:5], s[12:13]
	s_load_b64 s[12:13], s[4:5], 0x0
	s_wait_kmcnt 0x0
	s_sub_co_i32 s20, s12, s6
	s_sub_co_i32 s11, s13, s6
.LBB37_5:
	s_bfe_u32 s3, ttmp6, 0x40010
	s_bfe_u32 s4, ttmp6, 0x40004
	s_add_co_i32 s3, s3, 1
	v_bfe_u32 v11, v0, 10, 10
	s_mul_i32 s3, ttmp7, s3
	v_and_b32_e32 v22, 0x3ff, v0
	s_add_co_i32 s4, s4, s3
	s_cmp_eq_u32 s2, 0
	v_mov_b64_e32 v[0:1], 0
	s_cselect_b32 s2, ttmp7, s4
	v_mov_b64_e32 v[16:17], 0
	v_lshl_add_u32 v14, s2, 4, v11
	v_cmp_eq_u32_e64 s3, 0, v22
	s_cmp_ge_i32 s20, s11
	v_ashrrev_i32_e32 v15, 31, v14
	v_cmp_gt_i32_e64 s2, s18, v14
	s_cbranch_scc1 .LBB37_17
; %bb.6:
	v_mul_u64_e32 v[12:13], s[8:9], v[14:15]
	s_clause 0x1
	s_load_b64 s[22:23], s[0:1], 0x40
	s_load_b128 s[12:15], s[0:1], 0x28
	v_mul_u32_u24_e32 v27, 3, v11
	v_dual_lshlrev_b32 v16, 4, v22 :: v_dual_mov_b32 v10, 0
	v_cmp_lt_u32_e32 vcc_lo, 2, v22
	v_cmp_gt_u32_e64 s4, 3, v11
	s_delay_alu instid0(VALU_DEP_4)
	v_add_lshl_u32 v24, v27, v22, 4
	s_xor_b32 s5, s2, -1
	v_mov_b32_e32 v17, v10
	v_mad_u32 v23, s20, 3, v11
	s_or_b32 s17, s5, vcc_lo
	s_and_b32 s18, s3, s4
	s_cmp_lg_u32 s16, 0x6f
	v_mov_b64_e32 v[0:1], 0
	v_add_nc_u32_e32 v25, 0x300, v16
	v_add_nc_u32_e32 v26, 0x300, v24
	s_cselect_b32 s16, -1, 0
	s_ashr_i32 s21, s20, 31
	v_lshlrev_b32_e32 v27, 4, v27
	s_wait_kmcnt 0x0
	v_lshl_add_u64 v[18:19], v[14:15], 4, s[22:23]
	s_lshl_b64 s[4:5], s[20:21], 2
	s_delay_alu instid0(SALU_CYCLE_1) | instskip(SKIP_1) | instid1(VALU_DEP_1)
	s_add_nc_u64 s[4:5], s[12:13], s[4:5]
	v_lshl_add_u64 v[12:13], v[12:13], 4, s[22:23]
	v_add_nc_u64_e32 v[20:21], v[12:13], v[16:17]
	v_mov_b64_e32 v[16:17], 0
	s_branch .LBB37_8
.LBB37_7:                               ;   in Loop: Header=BB37_8 Depth=1
	s_or_b32 exec_lo, exec_lo, s12
	s_wait_loadcnt_dscnt 0x0
	s_barrier_signal -1
	s_barrier_wait -1
	ds_load_b128 v[28:31], v27
	ds_load_b128 v[32:35], v25
	ds_load_b128 v[36:39], v25 offset:48
	ds_load_b128 v[40:43], v25 offset:96
	v_add_nc_u32_e32 v23, 3, v23
	s_add_co_i32 s20, s20, 1
	s_add_nc_u64 s[4:5], s[4:5], 4
	s_cmp_ge_i32 s20, s11
	s_wait_dscnt 0x2
	v_fmac_f64_e32 v[16:17], v[32:33], v[28:29]
	v_fmac_f64_e32 v[0:1], v[34:35], v[28:29]
	s_delay_alu instid0(VALU_DEP_2) | instskip(NEXT) | instid1(VALU_DEP_2)
	v_fma_f64 v[12:13], -v[34:35], v[30:31], v[16:17]
	v_fmac_f64_e32 v[0:1], v[32:33], v[30:31]
	ds_load_b128 v[28:31], v27 offset:16
	ds_load_b128 v[32:35], v27 offset:32
	s_wait_dscnt 0x0
	s_barrier_signal -1
	s_barrier_wait -1
	v_fmac_f64_e32 v[12:13], v[36:37], v[28:29]
	v_fmac_f64_e32 v[0:1], v[38:39], v[28:29]
	s_delay_alu instid0(VALU_DEP_2) | instskip(NEXT) | instid1(VALU_DEP_2)
	v_fma_f64 v[12:13], -v[38:39], v[30:31], v[12:13]
	v_fmac_f64_e32 v[0:1], v[36:37], v[30:31]
	s_delay_alu instid0(VALU_DEP_2) | instskip(NEXT) | instid1(VALU_DEP_2)
	v_fmac_f64_e32 v[12:13], v[40:41], v[32:33]
	v_fmac_f64_e32 v[0:1], v[42:43], v[32:33]
	s_delay_alu instid0(VALU_DEP_2) | instskip(NEXT) | instid1(VALU_DEP_2)
	v_fma_f64 v[16:17], -v[42:43], v[34:35], v[12:13]
	v_fmac_f64_e32 v[0:1], v[40:41], v[34:35]
	s_cbranch_scc1 .LBB37_17
.LBB37_8:                               ; =>This Inner Loop Header: Depth=1
	s_and_saveexec_b32 s12, s17
	s_delay_alu instid0(SALU_CYCLE_1)
	s_xor_b32 s12, exec_lo, s12
; %bb.9:                                ;   in Loop: Header=BB37_8 Depth=1
	v_dual_mov_b32 v11, v10 :: v_dual_mov_b32 v12, v10
	v_mov_b32_e32 v13, v10
	ds_store_b128 v24, v[10:13]
; %bb.10:                               ;   in Loop: Header=BB37_8 Depth=1
	s_and_not1_saveexec_b32 s19, s12
	s_cbranch_execz .LBB37_15
; %bb.11:                               ;   in Loop: Header=BB37_8 Depth=1
	s_load_b32 s12, s[4:5], 0x0
	s_mov_b32 s13, -1
	s_and_b32 vcc_lo, exec_lo, s16
	s_wait_kmcnt 0x0
	s_sub_co_i32 s12, s12, s6
	s_delay_alu instid0(SALU_CYCLE_1)
	s_mul_i32 s12, s12, 3
	s_cbranch_vccz .LBB37_13
; %bb.12:                               ;   in Loop: Header=BB37_8 Depth=1
	v_add_nc_u32_e32 v12, s12, v22
	s_mov_b32 s13, 0
	s_delay_alu instid0(VALU_DEP_1) | instskip(NEXT) | instid1(VALU_DEP_1)
	v_ashrrev_i32_e32 v13, 31, v12
	v_mul_u64_e32 v[12:13], s[8:9], v[12:13]
	s_delay_alu instid0(VALU_DEP_1)
	v_lshl_add_u64 v[12:13], v[12:13], 4, v[18:19]
	global_load_b128 v[28:31], v[12:13], off
	s_wait_loadcnt 0x0
	ds_store_2addr_b64 v24, v[28:29], v[30:31] offset1:1
.LBB37_13:                              ;   in Loop: Header=BB37_8 Depth=1
	s_and_not1_b32 vcc_lo, exec_lo, s13
	s_cbranch_vccnz .LBB37_15
; %bb.14:                               ;   in Loop: Header=BB37_8 Depth=1
	s_ashr_i32 s13, s12, 31
	s_delay_alu instid0(SALU_CYCLE_1)
	v_lshl_add_u64 v[12:13], s[12:13], 4, v[20:21]
	global_load_b128 v[28:31], v[12:13], off
	s_wait_loadcnt 0x0
	ds_store_2addr_b64 v24, v[28:29], v[30:31] offset1:1
.LBB37_15:                              ;   in Loop: Header=BB37_8 Depth=1
	s_or_b32 exec_lo, exec_lo, s19
	s_and_saveexec_b32 s12, s18
	s_cbranch_execz .LBB37_7
; %bb.16:                               ;   in Loop: Header=BB37_8 Depth=1
	global_load_b128 v[28:31], v23, s[14:15] scale_offset
	s_wait_loadcnt 0x0
	ds_store_2addr_b64 v26, v[28:29], v[30:31] offset1:1
	s_branch .LBB37_7
.LBB37_17:
	s_load_b64 s[4:5], s[0:1], 0x60
	s_and_b32 s2, s3, s2
	s_delay_alu instid0(SALU_CYCLE_1) | instskip(NEXT) | instid1(SALU_CYCLE_1)
	s_and_b32 s2, s7, s2
	s_and_b32 exec_lo, exec_lo, s2
	s_cbranch_execz .LBB37_22
; %bb.18:
	s_delay_alu instid0(VALU_DEP_1)
	v_mul_f64_e64 v[10:11], v[0:1], -v[8:9]
	v_mul_f64_e32 v[12:13], v[6:7], v[0:1]
	s_wait_xcnt 0x0
	s_load_b64 s[0:1], s[0:1], 0x68
	s_wait_loadcnt_dscnt 0x0
	v_cmp_neq_f64_e32 vcc_lo, 0, v[2:3]
	v_add_nc_u32_e32 v0, s10, v22
	s_delay_alu instid0(VALU_DEP_1)
	v_ashrrev_i32_e32 v1, 31, v0
	s_wait_kmcnt 0x0
	v_mul_u64_e32 v[14:15], s[0:1], v[14:15]
	v_cmp_neq_f64_e64 s0, 0, v[4:5]
	v_fmac_f64_e32 v[10:11], v[6:7], v[16:17]
	v_fmac_f64_e32 v[12:13], v[8:9], v[16:17]
	s_delay_alu instid0(VALU_DEP_4) | instskip(SKIP_1) | instid1(SALU_CYCLE_1)
	v_lshl_add_u64 v[6:7], v[14:15], 4, s[4:5]
	s_or_b32 s0, vcc_lo, s0
	s_and_saveexec_b32 s1, s0
	s_delay_alu instid0(SALU_CYCLE_1)
	s_xor_b32 s0, exec_lo, s1
	s_cbranch_execz .LBB37_20
; %bb.19:
	v_lshl_add_u64 v[0:1], v[0:1], 4, v[6:7]
	global_load_b128 v[6:9], v[0:1], off
	s_wait_loadcnt 0x0
	v_fmac_f64_e32 v[10:11], v[2:3], v[6:7]
	v_fmac_f64_e32 v[12:13], v[4:5], v[6:7]
                                        ; implicit-def: $vgpr6_vgpr7
	s_delay_alu instid0(VALU_DEP_2) | instskip(NEXT) | instid1(VALU_DEP_2)
	v_fma_f64 v[10:11], -v[4:5], v[8:9], v[10:11]
	v_fmac_f64_e32 v[12:13], v[2:3], v[8:9]
	global_store_b128 v[0:1], v[10:13], off
                                        ; implicit-def: $vgpr0
                                        ; implicit-def: $vgpr10_vgpr11
.LBB37_20:
	s_wait_xcnt 0x0
	s_and_not1_saveexec_b32 s0, s0
	s_cbranch_execz .LBB37_22
; %bb.21:
	v_lshl_add_u64 v[0:1], v[0:1], 4, v[6:7]
	global_store_b128 v[0:1], v[10:13], off
.LBB37_22:
	s_endpgm
	.section	.rodata,"a",@progbits
	.p2align	6, 0x0
	.amdhsa_kernel _ZN9rocsparseL29gebsrmm_small_blockdim_kernelILi1ELi3ELi3ELi16E21rocsparse_complex_numIdEEEv20rocsparse_direction_20rocsparse_operation_iiNS_24const_host_device_scalarIT3_EEPKiS9_PKS6_iiSB_lS7_PS6_l21rocsparse_index_base_b
		.amdhsa_group_segment_fixed_size 912
		.amdhsa_private_segment_fixed_size 0
		.amdhsa_kernarg_size 120
		.amdhsa_user_sgpr_count 2
		.amdhsa_user_sgpr_dispatch_ptr 0
		.amdhsa_user_sgpr_queue_ptr 0
		.amdhsa_user_sgpr_kernarg_segment_ptr 1
		.amdhsa_user_sgpr_dispatch_id 0
		.amdhsa_user_sgpr_kernarg_preload_length 0
		.amdhsa_user_sgpr_kernarg_preload_offset 0
		.amdhsa_user_sgpr_private_segment_size 0
		.amdhsa_wavefront_size32 1
		.amdhsa_uses_dynamic_stack 0
		.amdhsa_enable_private_segment 0
		.amdhsa_system_sgpr_workgroup_id_x 1
		.amdhsa_system_sgpr_workgroup_id_y 1
		.amdhsa_system_sgpr_workgroup_id_z 0
		.amdhsa_system_sgpr_workgroup_info 0
		.amdhsa_system_vgpr_workitem_id 1
		.amdhsa_next_free_vgpr 44
		.amdhsa_next_free_sgpr 24
		.amdhsa_named_barrier_count 0
		.amdhsa_reserve_vcc 1
		.amdhsa_float_round_mode_32 0
		.amdhsa_float_round_mode_16_64 0
		.amdhsa_float_denorm_mode_32 3
		.amdhsa_float_denorm_mode_16_64 3
		.amdhsa_fp16_overflow 0
		.amdhsa_memory_ordered 1
		.amdhsa_forward_progress 1
		.amdhsa_inst_pref_size 10
		.amdhsa_round_robin_scheduling 0
		.amdhsa_exception_fp_ieee_invalid_op 0
		.amdhsa_exception_fp_denorm_src 0
		.amdhsa_exception_fp_ieee_div_zero 0
		.amdhsa_exception_fp_ieee_overflow 0
		.amdhsa_exception_fp_ieee_underflow 0
		.amdhsa_exception_fp_ieee_inexact 0
		.amdhsa_exception_int_div_zero 0
	.end_amdhsa_kernel
	.section	.text._ZN9rocsparseL29gebsrmm_small_blockdim_kernelILi1ELi3ELi3ELi16E21rocsparse_complex_numIdEEEv20rocsparse_direction_20rocsparse_operation_iiNS_24const_host_device_scalarIT3_EEPKiS9_PKS6_iiSB_lS7_PS6_l21rocsparse_index_base_b,"axG",@progbits,_ZN9rocsparseL29gebsrmm_small_blockdim_kernelILi1ELi3ELi3ELi16E21rocsparse_complex_numIdEEEv20rocsparse_direction_20rocsparse_operation_iiNS_24const_host_device_scalarIT3_EEPKiS9_PKS6_iiSB_lS7_PS6_l21rocsparse_index_base_b,comdat
.Lfunc_end37:
	.size	_ZN9rocsparseL29gebsrmm_small_blockdim_kernelILi1ELi3ELi3ELi16E21rocsparse_complex_numIdEEEv20rocsparse_direction_20rocsparse_operation_iiNS_24const_host_device_scalarIT3_EEPKiS9_PKS6_iiSB_lS7_PS6_l21rocsparse_index_base_b, .Lfunc_end37-_ZN9rocsparseL29gebsrmm_small_blockdim_kernelILi1ELi3ELi3ELi16E21rocsparse_complex_numIdEEEv20rocsparse_direction_20rocsparse_operation_iiNS_24const_host_device_scalarIT3_EEPKiS9_PKS6_iiSB_lS7_PS6_l21rocsparse_index_base_b
                                        ; -- End function
	.set _ZN9rocsparseL29gebsrmm_small_blockdim_kernelILi1ELi3ELi3ELi16E21rocsparse_complex_numIdEEEv20rocsparse_direction_20rocsparse_operation_iiNS_24const_host_device_scalarIT3_EEPKiS9_PKS6_iiSB_lS7_PS6_l21rocsparse_index_base_b.num_vgpr, 44
	.set _ZN9rocsparseL29gebsrmm_small_blockdim_kernelILi1ELi3ELi3ELi16E21rocsparse_complex_numIdEEEv20rocsparse_direction_20rocsparse_operation_iiNS_24const_host_device_scalarIT3_EEPKiS9_PKS6_iiSB_lS7_PS6_l21rocsparse_index_base_b.num_agpr, 0
	.set _ZN9rocsparseL29gebsrmm_small_blockdim_kernelILi1ELi3ELi3ELi16E21rocsparse_complex_numIdEEEv20rocsparse_direction_20rocsparse_operation_iiNS_24const_host_device_scalarIT3_EEPKiS9_PKS6_iiSB_lS7_PS6_l21rocsparse_index_base_b.numbered_sgpr, 24
	.set _ZN9rocsparseL29gebsrmm_small_blockdim_kernelILi1ELi3ELi3ELi16E21rocsparse_complex_numIdEEEv20rocsparse_direction_20rocsparse_operation_iiNS_24const_host_device_scalarIT3_EEPKiS9_PKS6_iiSB_lS7_PS6_l21rocsparse_index_base_b.num_named_barrier, 0
	.set _ZN9rocsparseL29gebsrmm_small_blockdim_kernelILi1ELi3ELi3ELi16E21rocsparse_complex_numIdEEEv20rocsparse_direction_20rocsparse_operation_iiNS_24const_host_device_scalarIT3_EEPKiS9_PKS6_iiSB_lS7_PS6_l21rocsparse_index_base_b.private_seg_size, 0
	.set _ZN9rocsparseL29gebsrmm_small_blockdim_kernelILi1ELi3ELi3ELi16E21rocsparse_complex_numIdEEEv20rocsparse_direction_20rocsparse_operation_iiNS_24const_host_device_scalarIT3_EEPKiS9_PKS6_iiSB_lS7_PS6_l21rocsparse_index_base_b.uses_vcc, 1
	.set _ZN9rocsparseL29gebsrmm_small_blockdim_kernelILi1ELi3ELi3ELi16E21rocsparse_complex_numIdEEEv20rocsparse_direction_20rocsparse_operation_iiNS_24const_host_device_scalarIT3_EEPKiS9_PKS6_iiSB_lS7_PS6_l21rocsparse_index_base_b.uses_flat_scratch, 0
	.set _ZN9rocsparseL29gebsrmm_small_blockdim_kernelILi1ELi3ELi3ELi16E21rocsparse_complex_numIdEEEv20rocsparse_direction_20rocsparse_operation_iiNS_24const_host_device_scalarIT3_EEPKiS9_PKS6_iiSB_lS7_PS6_l21rocsparse_index_base_b.has_dyn_sized_stack, 0
	.set _ZN9rocsparseL29gebsrmm_small_blockdim_kernelILi1ELi3ELi3ELi16E21rocsparse_complex_numIdEEEv20rocsparse_direction_20rocsparse_operation_iiNS_24const_host_device_scalarIT3_EEPKiS9_PKS6_iiSB_lS7_PS6_l21rocsparse_index_base_b.has_recursion, 0
	.set _ZN9rocsparseL29gebsrmm_small_blockdim_kernelILi1ELi3ELi3ELi16E21rocsparse_complex_numIdEEEv20rocsparse_direction_20rocsparse_operation_iiNS_24const_host_device_scalarIT3_EEPKiS9_PKS6_iiSB_lS7_PS6_l21rocsparse_index_base_b.has_indirect_call, 0
	.section	.AMDGPU.csdata,"",@progbits
; Kernel info:
; codeLenInByte = 1188
; TotalNumSgprs: 26
; NumVgprs: 44
; ScratchSize: 0
; MemoryBound: 0
; FloatMode: 240
; IeeeMode: 1
; LDSByteSize: 912 bytes/workgroup (compile time only)
; SGPRBlocks: 0
; VGPRBlocks: 2
; NumSGPRsForWavesPerEU: 26
; NumVGPRsForWavesPerEU: 44
; NamedBarCnt: 0
; Occupancy: 16
; WaveLimiterHint : 0
; COMPUTE_PGM_RSRC2:SCRATCH_EN: 0
; COMPUTE_PGM_RSRC2:USER_SGPR: 2
; COMPUTE_PGM_RSRC2:TRAP_HANDLER: 0
; COMPUTE_PGM_RSRC2:TGID_X_EN: 1
; COMPUTE_PGM_RSRC2:TGID_Y_EN: 1
; COMPUTE_PGM_RSRC2:TGID_Z_EN: 0
; COMPUTE_PGM_RSRC2:TIDIG_COMP_CNT: 1
	.section	.text._ZN9rocsparseL29gebsrmm_small_blockdim_kernelILi1ELi4ELi4ELi16E21rocsparse_complex_numIdEEEv20rocsparse_direction_20rocsparse_operation_iiNS_24const_host_device_scalarIT3_EEPKiS9_PKS6_iiSB_lS7_PS6_l21rocsparse_index_base_b,"axG",@progbits,_ZN9rocsparseL29gebsrmm_small_blockdim_kernelILi1ELi4ELi4ELi16E21rocsparse_complex_numIdEEEv20rocsparse_direction_20rocsparse_operation_iiNS_24const_host_device_scalarIT3_EEPKiS9_PKS6_iiSB_lS7_PS6_l21rocsparse_index_base_b,comdat
	.globl	_ZN9rocsparseL29gebsrmm_small_blockdim_kernelILi1ELi4ELi4ELi16E21rocsparse_complex_numIdEEEv20rocsparse_direction_20rocsparse_operation_iiNS_24const_host_device_scalarIT3_EEPKiS9_PKS6_iiSB_lS7_PS6_l21rocsparse_index_base_b ; -- Begin function _ZN9rocsparseL29gebsrmm_small_blockdim_kernelILi1ELi4ELi4ELi16E21rocsparse_complex_numIdEEEv20rocsparse_direction_20rocsparse_operation_iiNS_24const_host_device_scalarIT3_EEPKiS9_PKS6_iiSB_lS7_PS6_l21rocsparse_index_base_b
	.p2align	8
	.type	_ZN9rocsparseL29gebsrmm_small_blockdim_kernelILi1ELi4ELi4ELi16E21rocsparse_complex_numIdEEEv20rocsparse_direction_20rocsparse_operation_iiNS_24const_host_device_scalarIT3_EEPKiS9_PKS6_iiSB_lS7_PS6_l21rocsparse_index_base_b,@function
_ZN9rocsparseL29gebsrmm_small_blockdim_kernelILi1ELi4ELi4ELi16E21rocsparse_complex_numIdEEEv20rocsparse_direction_20rocsparse_operation_iiNS_24const_host_device_scalarIT3_EEPKiS9_PKS6_iiSB_lS7_PS6_l21rocsparse_index_base_b: ; @_ZN9rocsparseL29gebsrmm_small_blockdim_kernelILi1ELi4ELi4ELi16E21rocsparse_complex_numIdEEEv20rocsparse_direction_20rocsparse_operation_iiNS_24const_host_device_scalarIT3_EEPKiS9_PKS6_iiSB_lS7_PS6_l21rocsparse_index_base_b
; %bb.0:
	s_clause 0x1
	s_load_b64 s[6:7], s[0:1], 0x70
	s_load_b64 s[2:3], s[0:1], 0x10
	v_mov_b32_e32 v1, 0
	s_add_nc_u64 s[4:5], s[0:1], 16
	s_load_b128 s[8:11], s[0:1], 0x48
	s_wait_kmcnt 0x0
	s_bitcmp1_b32 s7, 0
	s_cselect_b32 s3, s5, s3
	s_cselect_b32 s2, s4, s2
	flat_load_b128 v[6:9], v1, s[2:3]
	s_wait_xcnt 0x0
	s_add_nc_u64 s[2:3], s[0:1], 0x50
	s_delay_alu instid0(SALU_CYCLE_1)
	s_cselect_b32 s3, s3, s11
	s_cselect_b32 s2, s2, s10
	flat_load_b128 v[2:5], v1, s[2:3]
	s_wait_loadcnt_dscnt 0x101
	v_cmp_eq_f64_e32 vcc_lo, 0, v[6:7]
	s_wait_xcnt 0x0
	v_cmp_eq_f64_e64 s2, 0, v[8:9]
	s_and_b32 s4, vcc_lo, s2
	s_mov_b32 s2, -1
	s_and_saveexec_b32 s3, s4
	s_cbranch_execz .LBB38_2
; %bb.1:
	s_wait_loadcnt_dscnt 0x0
	v_cmp_neq_f64_e32 vcc_lo, 1.0, v[2:3]
	v_cmp_neq_f64_e64 s2, 0, v[4:5]
	s_or_b32 s2, vcc_lo, s2
	s_delay_alu instid0(SALU_CYCLE_1)
	s_or_not1_b32 s2, s2, exec_lo
.LBB38_2:
	s_or_b32 exec_lo, exec_lo, s3
	s_and_saveexec_b32 s3, s2
	s_cbranch_execz .LBB38_22
; %bb.3:
	s_load_b96 s[16:18], s[0:1], 0x4
	s_bfe_u32 s2, ttmp6, 0x4000c
	s_and_b32 s3, ttmp6, 15
	s_add_co_i32 s2, s2, 1
	s_mov_b32 s20, 0
	s_mul_i32 s4, ttmp9, s2
	s_getreg_b32 s2, hwreg(HW_REG_IB_STS2, 6, 4)
	s_add_co_i32 s3, s3, s4
	s_cmp_eq_u32 s2, 0
	s_mov_b32 s11, 0
	s_cselect_b32 s10, ttmp9, s3
	s_wait_kmcnt 0x0
	s_cmp_lt_i32 s10, s17
	s_cselect_b32 s7, -1, 0
	s_cmp_ge_i32 s10, s17
	s_cbranch_scc1 .LBB38_5
; %bb.4:
	s_load_b64 s[4:5], s[0:1], 0x20
	s_ashr_i32 s11, s10, 31
	s_delay_alu instid0(SALU_CYCLE_1)
	s_lshl_b64 s[12:13], s[10:11], 2
	s_wait_kmcnt 0x0
	s_add_nc_u64 s[4:5], s[4:5], s[12:13]
	s_load_b64 s[12:13], s[4:5], 0x0
	s_wait_kmcnt 0x0
	s_sub_co_i32 s20, s12, s6
	s_sub_co_i32 s11, s13, s6
.LBB38_5:
	s_bfe_u32 s3, ttmp6, 0x40010
	s_bfe_u32 s4, ttmp6, 0x40004
	s_add_co_i32 s3, s3, 1
	v_bfe_u32 v11, v0, 10, 10
	s_mul_i32 s3, ttmp7, s3
	v_and_b32_e32 v22, 0x3ff, v0
	s_add_co_i32 s4, s4, s3
	s_cmp_eq_u32 s2, 0
	v_mov_b64_e32 v[0:1], 0
	s_cselect_b32 s2, ttmp7, s4
	v_mov_b64_e32 v[20:21], 0
	v_lshl_add_u32 v14, s2, 4, v11
	v_cmp_eq_u32_e64 s3, 0, v22
	s_cmp_ge_i32 s20, s11
	v_ashrrev_i32_e32 v15, 31, v14
	v_cmp_gt_i32_e64 s2, s18, v14
	s_cbranch_scc1 .LBB38_17
; %bb.6:
	v_mul_u64_e32 v[12:13], s[8:9], v[14:15]
	s_clause 0x1
	s_load_b64 s[22:23], s[0:1], 0x40
	s_load_b128 s[12:15], s[0:1], 0x28
	v_dual_lshlrev_b32 v16, 2, v11 :: v_dual_lshlrev_b32 v18, 4, v22
	v_dual_mov_b32 v10, 0 :: v_dual_lshlrev_b32 v23, 6, v11
	v_cmp_lt_u32_e32 vcc_lo, 3, v22
	v_cmp_gt_u32_e64 s4, 4, v11
	s_delay_alu instid0(VALU_DEP_4) | instskip(NEXT) | instid1(VALU_DEP_4)
	v_add_lshl_u32 v24, v16, v22, 4
	v_mov_b32_e32 v19, v10
	s_xor_b32 s5, s2, -1
	v_mov_b64_e32 v[0:1], 0
	s_or_b32 s17, s5, vcc_lo
	s_and_b32 s18, s3, s4
	s_cmp_lg_u32 s16, 0x6f
	v_add_nc_u32_e32 v25, 0x400, v18
	v_add_nc_u32_e32 v26, 0x400, v24
	v_mov_b64_e32 v[20:21], 0
	s_cselect_b32 s16, -1, 0
	s_ashr_i32 s21, s20, 31
	s_wait_kmcnt 0x0
	v_lshl_add_u64 v[16:17], v[14:15], 4, s[22:23]
	v_lshl_add_u32 v27, s20, 2, v11
	s_lshl_b64 s[4:5], s[20:21], 2
	s_delay_alu instid0(SALU_CYCLE_1) | instskip(SKIP_1) | instid1(VALU_DEP_1)
	s_add_nc_u64 s[4:5], s[12:13], s[4:5]
	v_lshl_add_u64 v[12:13], v[12:13], 4, s[22:23]
	v_add_nc_u64_e32 v[18:19], v[12:13], v[18:19]
	s_branch .LBB38_8
.LBB38_7:                               ;   in Loop: Header=BB38_8 Depth=1
	s_or_b32 exec_lo, exec_lo, s12
	s_wait_loadcnt_dscnt 0x0
	s_barrier_signal -1
	s_barrier_wait -1
	ds_load_b128 v[28:31], v25
	ds_load_b128 v[32:35], v23
	ds_load_b128 v[36:39], v23 offset:16
	ds_load_b128 v[40:43], v25 offset:64
	v_add_nc_u32_e32 v27, 4, v27
	s_add_co_i32 s20, s20, 1
	s_add_nc_u64 s[4:5], s[4:5], 4
	s_cmp_ge_i32 s20, s11
	s_wait_dscnt 0x2
	v_fmac_f64_e32 v[20:21], v[28:29], v[32:33]
	v_fmac_f64_e32 v[0:1], v[30:31], v[32:33]
	s_delay_alu instid0(VALU_DEP_2) | instskip(NEXT) | instid1(VALU_DEP_2)
	v_fma_f64 v[12:13], -v[30:31], v[34:35], v[20:21]
	v_fmac_f64_e32 v[0:1], v[28:29], v[34:35]
	s_wait_dscnt 0x0
	s_delay_alu instid0(VALU_DEP_2) | instskip(NEXT) | instid1(VALU_DEP_2)
	v_fmac_f64_e32 v[12:13], v[40:41], v[36:37]
	v_fmac_f64_e32 v[0:1], v[42:43], v[36:37]
	s_delay_alu instid0(VALU_DEP_2) | instskip(NEXT) | instid1(VALU_DEP_2)
	v_fma_f64 v[12:13], -v[42:43], v[38:39], v[12:13]
	v_fmac_f64_e32 v[0:1], v[40:41], v[38:39]
	ds_load_b128 v[28:31], v25 offset:128
	ds_load_b128 v[32:35], v23 offset:32
	;; [unrolled: 1-line block ×4, first 2 shown]
	s_wait_dscnt 0x0
	s_barrier_signal -1
	s_barrier_wait -1
	v_fmac_f64_e32 v[12:13], v[28:29], v[32:33]
	v_fmac_f64_e32 v[0:1], v[30:31], v[32:33]
	s_delay_alu instid0(VALU_DEP_2) | instskip(NEXT) | instid1(VALU_DEP_2)
	v_fma_f64 v[12:13], -v[30:31], v[34:35], v[12:13]
	v_fmac_f64_e32 v[0:1], v[28:29], v[34:35]
	s_delay_alu instid0(VALU_DEP_2) | instskip(NEXT) | instid1(VALU_DEP_2)
	v_fmac_f64_e32 v[12:13], v[40:41], v[36:37]
	v_fmac_f64_e32 v[0:1], v[42:43], v[36:37]
	s_delay_alu instid0(VALU_DEP_2) | instskip(NEXT) | instid1(VALU_DEP_2)
	v_fma_f64 v[20:21], -v[42:43], v[38:39], v[12:13]
	v_fmac_f64_e32 v[0:1], v[40:41], v[38:39]
	s_cbranch_scc1 .LBB38_17
.LBB38_8:                               ; =>This Inner Loop Header: Depth=1
	s_and_saveexec_b32 s12, s17
	s_delay_alu instid0(SALU_CYCLE_1)
	s_xor_b32 s12, exec_lo, s12
; %bb.9:                                ;   in Loop: Header=BB38_8 Depth=1
	v_dual_mov_b32 v11, v10 :: v_dual_mov_b32 v12, v10
	v_mov_b32_e32 v13, v10
	ds_store_b128 v24, v[10:13]
; %bb.10:                               ;   in Loop: Header=BB38_8 Depth=1
	s_and_not1_saveexec_b32 s19, s12
	s_cbranch_execz .LBB38_15
; %bb.11:                               ;   in Loop: Header=BB38_8 Depth=1
	s_load_b32 s12, s[4:5], 0x0
	s_mov_b32 s13, -1
	s_and_b32 vcc_lo, exec_lo, s16
	s_wait_kmcnt 0x0
	s_sub_co_i32 s12, s12, s6
	s_delay_alu instid0(SALU_CYCLE_1)
	s_lshl_b32 s12, s12, 2
	s_cbranch_vccz .LBB38_13
; %bb.12:                               ;   in Loop: Header=BB38_8 Depth=1
	v_or_b32_e32 v12, s12, v22
	s_mov_b32 s13, 0
	s_delay_alu instid0(VALU_DEP_1) | instskip(NEXT) | instid1(VALU_DEP_1)
	v_ashrrev_i32_e32 v13, 31, v12
	v_mul_u64_e32 v[12:13], s[8:9], v[12:13]
	s_delay_alu instid0(VALU_DEP_1)
	v_lshl_add_u64 v[12:13], v[12:13], 4, v[16:17]
	global_load_b128 v[28:31], v[12:13], off
	s_wait_loadcnt 0x0
	ds_store_2addr_b64 v24, v[28:29], v[30:31] offset1:1
.LBB38_13:                              ;   in Loop: Header=BB38_8 Depth=1
	s_and_not1_b32 vcc_lo, exec_lo, s13
	s_cbranch_vccnz .LBB38_15
; %bb.14:                               ;   in Loop: Header=BB38_8 Depth=1
	s_ashr_i32 s13, s12, 31
	s_delay_alu instid0(SALU_CYCLE_1)
	v_lshl_add_u64 v[12:13], s[12:13], 4, v[18:19]
	global_load_b128 v[28:31], v[12:13], off
	s_wait_loadcnt 0x0
	ds_store_2addr_b64 v24, v[28:29], v[30:31] offset1:1
.LBB38_15:                              ;   in Loop: Header=BB38_8 Depth=1
	s_or_b32 exec_lo, exec_lo, s19
	s_and_saveexec_b32 s12, s18
	s_cbranch_execz .LBB38_7
; %bb.16:                               ;   in Loop: Header=BB38_8 Depth=1
	global_load_b128 v[28:31], v27, s[14:15] scale_offset
	s_wait_loadcnt 0x0
	ds_store_2addr_b64 v26, v[28:29], v[30:31] offset1:1
	s_branch .LBB38_7
.LBB38_17:
	s_load_b64 s[4:5], s[0:1], 0x60
	s_and_b32 s2, s3, s2
	s_delay_alu instid0(SALU_CYCLE_1) | instskip(NEXT) | instid1(SALU_CYCLE_1)
	s_and_b32 s2, s7, s2
	s_and_b32 exec_lo, exec_lo, s2
	s_cbranch_execz .LBB38_22
; %bb.18:
	s_delay_alu instid0(VALU_DEP_1)
	v_mul_f64_e64 v[10:11], v[0:1], -v[8:9]
	v_mul_f64_e32 v[12:13], v[6:7], v[0:1]
	s_wait_xcnt 0x0
	s_load_b64 s[0:1], s[0:1], 0x68
	s_wait_loadcnt_dscnt 0x0
	v_cmp_neq_f64_e32 vcc_lo, 0, v[2:3]
	v_add_nc_u32_e32 v0, s10, v22
	s_delay_alu instid0(VALU_DEP_1)
	v_ashrrev_i32_e32 v1, 31, v0
	s_wait_kmcnt 0x0
	v_mul_u64_e32 v[14:15], s[0:1], v[14:15]
	v_cmp_neq_f64_e64 s0, 0, v[4:5]
	v_fmac_f64_e32 v[10:11], v[6:7], v[20:21]
	v_fmac_f64_e32 v[12:13], v[8:9], v[20:21]
	s_delay_alu instid0(VALU_DEP_4) | instskip(SKIP_1) | instid1(SALU_CYCLE_1)
	v_lshl_add_u64 v[6:7], v[14:15], 4, s[4:5]
	s_or_b32 s0, vcc_lo, s0
	s_and_saveexec_b32 s1, s0
	s_delay_alu instid0(SALU_CYCLE_1)
	s_xor_b32 s0, exec_lo, s1
	s_cbranch_execz .LBB38_20
; %bb.19:
	v_lshl_add_u64 v[0:1], v[0:1], 4, v[6:7]
	global_load_b128 v[6:9], v[0:1], off
	s_wait_loadcnt 0x0
	v_fmac_f64_e32 v[10:11], v[2:3], v[6:7]
	v_fmac_f64_e32 v[12:13], v[4:5], v[6:7]
                                        ; implicit-def: $vgpr6_vgpr7
	s_delay_alu instid0(VALU_DEP_2) | instskip(NEXT) | instid1(VALU_DEP_2)
	v_fma_f64 v[10:11], -v[4:5], v[8:9], v[10:11]
	v_fmac_f64_e32 v[12:13], v[2:3], v[8:9]
	global_store_b128 v[0:1], v[10:13], off
                                        ; implicit-def: $vgpr0
                                        ; implicit-def: $vgpr10_vgpr11
.LBB38_20:
	s_wait_xcnt 0x0
	s_and_not1_saveexec_b32 s0, s0
	s_cbranch_execz .LBB38_22
; %bb.21:
	v_lshl_add_u64 v[0:1], v[0:1], 4, v[6:7]
	global_store_b128 v[0:1], v[10:13], off
.LBB38_22:
	s_endpgm
	.section	.rodata,"a",@progbits
	.p2align	6, 0x0
	.amdhsa_kernel _ZN9rocsparseL29gebsrmm_small_blockdim_kernelILi1ELi4ELi4ELi16E21rocsparse_complex_numIdEEEv20rocsparse_direction_20rocsparse_operation_iiNS_24const_host_device_scalarIT3_EEPKiS9_PKS6_iiSB_lS7_PS6_l21rocsparse_index_base_b
		.amdhsa_group_segment_fixed_size 1280
		.amdhsa_private_segment_fixed_size 0
		.amdhsa_kernarg_size 120
		.amdhsa_user_sgpr_count 2
		.amdhsa_user_sgpr_dispatch_ptr 0
		.amdhsa_user_sgpr_queue_ptr 0
		.amdhsa_user_sgpr_kernarg_segment_ptr 1
		.amdhsa_user_sgpr_dispatch_id 0
		.amdhsa_user_sgpr_kernarg_preload_length 0
		.amdhsa_user_sgpr_kernarg_preload_offset 0
		.amdhsa_user_sgpr_private_segment_size 0
		.amdhsa_wavefront_size32 1
		.amdhsa_uses_dynamic_stack 0
		.amdhsa_enable_private_segment 0
		.amdhsa_system_sgpr_workgroup_id_x 1
		.amdhsa_system_sgpr_workgroup_id_y 1
		.amdhsa_system_sgpr_workgroup_id_z 0
		.amdhsa_system_sgpr_workgroup_info 0
		.amdhsa_system_vgpr_workitem_id 1
		.amdhsa_next_free_vgpr 44
		.amdhsa_next_free_sgpr 24
		.amdhsa_named_barrier_count 0
		.amdhsa_reserve_vcc 1
		.amdhsa_float_round_mode_32 0
		.amdhsa_float_round_mode_16_64 0
		.amdhsa_float_denorm_mode_32 3
		.amdhsa_float_denorm_mode_16_64 3
		.amdhsa_fp16_overflow 0
		.amdhsa_memory_ordered 1
		.amdhsa_forward_progress 1
		.amdhsa_inst_pref_size 10
		.amdhsa_round_robin_scheduling 0
		.amdhsa_exception_fp_ieee_invalid_op 0
		.amdhsa_exception_fp_denorm_src 0
		.amdhsa_exception_fp_ieee_div_zero 0
		.amdhsa_exception_fp_ieee_overflow 0
		.amdhsa_exception_fp_ieee_underflow 0
		.amdhsa_exception_fp_ieee_inexact 0
		.amdhsa_exception_int_div_zero 0
	.end_amdhsa_kernel
	.section	.text._ZN9rocsparseL29gebsrmm_small_blockdim_kernelILi1ELi4ELi4ELi16E21rocsparse_complex_numIdEEEv20rocsparse_direction_20rocsparse_operation_iiNS_24const_host_device_scalarIT3_EEPKiS9_PKS6_iiSB_lS7_PS6_l21rocsparse_index_base_b,"axG",@progbits,_ZN9rocsparseL29gebsrmm_small_blockdim_kernelILi1ELi4ELi4ELi16E21rocsparse_complex_numIdEEEv20rocsparse_direction_20rocsparse_operation_iiNS_24const_host_device_scalarIT3_EEPKiS9_PKS6_iiSB_lS7_PS6_l21rocsparse_index_base_b,comdat
.Lfunc_end38:
	.size	_ZN9rocsparseL29gebsrmm_small_blockdim_kernelILi1ELi4ELi4ELi16E21rocsparse_complex_numIdEEEv20rocsparse_direction_20rocsparse_operation_iiNS_24const_host_device_scalarIT3_EEPKiS9_PKS6_iiSB_lS7_PS6_l21rocsparse_index_base_b, .Lfunc_end38-_ZN9rocsparseL29gebsrmm_small_blockdim_kernelILi1ELi4ELi4ELi16E21rocsparse_complex_numIdEEEv20rocsparse_direction_20rocsparse_operation_iiNS_24const_host_device_scalarIT3_EEPKiS9_PKS6_iiSB_lS7_PS6_l21rocsparse_index_base_b
                                        ; -- End function
	.set _ZN9rocsparseL29gebsrmm_small_blockdim_kernelILi1ELi4ELi4ELi16E21rocsparse_complex_numIdEEEv20rocsparse_direction_20rocsparse_operation_iiNS_24const_host_device_scalarIT3_EEPKiS9_PKS6_iiSB_lS7_PS6_l21rocsparse_index_base_b.num_vgpr, 44
	.set _ZN9rocsparseL29gebsrmm_small_blockdim_kernelILi1ELi4ELi4ELi16E21rocsparse_complex_numIdEEEv20rocsparse_direction_20rocsparse_operation_iiNS_24const_host_device_scalarIT3_EEPKiS9_PKS6_iiSB_lS7_PS6_l21rocsparse_index_base_b.num_agpr, 0
	.set _ZN9rocsparseL29gebsrmm_small_blockdim_kernelILi1ELi4ELi4ELi16E21rocsparse_complex_numIdEEEv20rocsparse_direction_20rocsparse_operation_iiNS_24const_host_device_scalarIT3_EEPKiS9_PKS6_iiSB_lS7_PS6_l21rocsparse_index_base_b.numbered_sgpr, 24
	.set _ZN9rocsparseL29gebsrmm_small_blockdim_kernelILi1ELi4ELi4ELi16E21rocsparse_complex_numIdEEEv20rocsparse_direction_20rocsparse_operation_iiNS_24const_host_device_scalarIT3_EEPKiS9_PKS6_iiSB_lS7_PS6_l21rocsparse_index_base_b.num_named_barrier, 0
	.set _ZN9rocsparseL29gebsrmm_small_blockdim_kernelILi1ELi4ELi4ELi16E21rocsparse_complex_numIdEEEv20rocsparse_direction_20rocsparse_operation_iiNS_24const_host_device_scalarIT3_EEPKiS9_PKS6_iiSB_lS7_PS6_l21rocsparse_index_base_b.private_seg_size, 0
	.set _ZN9rocsparseL29gebsrmm_small_blockdim_kernelILi1ELi4ELi4ELi16E21rocsparse_complex_numIdEEEv20rocsparse_direction_20rocsparse_operation_iiNS_24const_host_device_scalarIT3_EEPKiS9_PKS6_iiSB_lS7_PS6_l21rocsparse_index_base_b.uses_vcc, 1
	.set _ZN9rocsparseL29gebsrmm_small_blockdim_kernelILi1ELi4ELi4ELi16E21rocsparse_complex_numIdEEEv20rocsparse_direction_20rocsparse_operation_iiNS_24const_host_device_scalarIT3_EEPKiS9_PKS6_iiSB_lS7_PS6_l21rocsparse_index_base_b.uses_flat_scratch, 0
	.set _ZN9rocsparseL29gebsrmm_small_blockdim_kernelILi1ELi4ELi4ELi16E21rocsparse_complex_numIdEEEv20rocsparse_direction_20rocsparse_operation_iiNS_24const_host_device_scalarIT3_EEPKiS9_PKS6_iiSB_lS7_PS6_l21rocsparse_index_base_b.has_dyn_sized_stack, 0
	.set _ZN9rocsparseL29gebsrmm_small_blockdim_kernelILi1ELi4ELi4ELi16E21rocsparse_complex_numIdEEEv20rocsparse_direction_20rocsparse_operation_iiNS_24const_host_device_scalarIT3_EEPKiS9_PKS6_iiSB_lS7_PS6_l21rocsparse_index_base_b.has_recursion, 0
	.set _ZN9rocsparseL29gebsrmm_small_blockdim_kernelILi1ELi4ELi4ELi16E21rocsparse_complex_numIdEEEv20rocsparse_direction_20rocsparse_operation_iiNS_24const_host_device_scalarIT3_EEPKiS9_PKS6_iiSB_lS7_PS6_l21rocsparse_index_base_b.has_indirect_call, 0
	.section	.AMDGPU.csdata,"",@progbits
; Kernel info:
; codeLenInByte = 1236
; TotalNumSgprs: 26
; NumVgprs: 44
; ScratchSize: 0
; MemoryBound: 0
; FloatMode: 240
; IeeeMode: 1
; LDSByteSize: 1280 bytes/workgroup (compile time only)
; SGPRBlocks: 0
; VGPRBlocks: 2
; NumSGPRsForWavesPerEU: 26
; NumVGPRsForWavesPerEU: 44
; NamedBarCnt: 0
; Occupancy: 16
; WaveLimiterHint : 0
; COMPUTE_PGM_RSRC2:SCRATCH_EN: 0
; COMPUTE_PGM_RSRC2:USER_SGPR: 2
; COMPUTE_PGM_RSRC2:TRAP_HANDLER: 0
; COMPUTE_PGM_RSRC2:TGID_X_EN: 1
; COMPUTE_PGM_RSRC2:TGID_Y_EN: 1
; COMPUTE_PGM_RSRC2:TGID_Z_EN: 0
; COMPUTE_PGM_RSRC2:TIDIG_COMP_CNT: 1
	.section	.text._ZN9rocsparseL29gebsrmm_small_blockdim_kernelILi2ELi1ELi2ELi16E21rocsparse_complex_numIdEEEv20rocsparse_direction_20rocsparse_operation_iiNS_24const_host_device_scalarIT3_EEPKiS9_PKS6_iiSB_lS7_PS6_l21rocsparse_index_base_b,"axG",@progbits,_ZN9rocsparseL29gebsrmm_small_blockdim_kernelILi2ELi1ELi2ELi16E21rocsparse_complex_numIdEEEv20rocsparse_direction_20rocsparse_operation_iiNS_24const_host_device_scalarIT3_EEPKiS9_PKS6_iiSB_lS7_PS6_l21rocsparse_index_base_b,comdat
	.globl	_ZN9rocsparseL29gebsrmm_small_blockdim_kernelILi2ELi1ELi2ELi16E21rocsparse_complex_numIdEEEv20rocsparse_direction_20rocsparse_operation_iiNS_24const_host_device_scalarIT3_EEPKiS9_PKS6_iiSB_lS7_PS6_l21rocsparse_index_base_b ; -- Begin function _ZN9rocsparseL29gebsrmm_small_blockdim_kernelILi2ELi1ELi2ELi16E21rocsparse_complex_numIdEEEv20rocsparse_direction_20rocsparse_operation_iiNS_24const_host_device_scalarIT3_EEPKiS9_PKS6_iiSB_lS7_PS6_l21rocsparse_index_base_b
	.p2align	8
	.type	_ZN9rocsparseL29gebsrmm_small_blockdim_kernelILi2ELi1ELi2ELi16E21rocsparse_complex_numIdEEEv20rocsparse_direction_20rocsparse_operation_iiNS_24const_host_device_scalarIT3_EEPKiS9_PKS6_iiSB_lS7_PS6_l21rocsparse_index_base_b,@function
_ZN9rocsparseL29gebsrmm_small_blockdim_kernelILi2ELi1ELi2ELi16E21rocsparse_complex_numIdEEEv20rocsparse_direction_20rocsparse_operation_iiNS_24const_host_device_scalarIT3_EEPKiS9_PKS6_iiSB_lS7_PS6_l21rocsparse_index_base_b: ; @_ZN9rocsparseL29gebsrmm_small_blockdim_kernelILi2ELi1ELi2ELi16E21rocsparse_complex_numIdEEEv20rocsparse_direction_20rocsparse_operation_iiNS_24const_host_device_scalarIT3_EEPKiS9_PKS6_iiSB_lS7_PS6_l21rocsparse_index_base_b
; %bb.0:
	s_clause 0x1
	s_load_b64 s[6:7], s[0:1], 0x70
	s_load_b64 s[2:3], s[0:1], 0x10
	v_mov_b32_e32 v1, 0
	s_add_nc_u64 s[4:5], s[0:1], 16
	s_load_b128 s[8:11], s[0:1], 0x48
	s_wait_kmcnt 0x0
	s_bitcmp1_b32 s7, 0
	s_cselect_b32 s3, s5, s3
	s_cselect_b32 s2, s4, s2
	flat_load_b128 v[6:9], v1, s[2:3]
	s_wait_xcnt 0x0
	s_add_nc_u64 s[2:3], s[0:1], 0x50
	s_delay_alu instid0(SALU_CYCLE_1)
	s_cselect_b32 s3, s3, s11
	s_cselect_b32 s2, s2, s10
	flat_load_b128 v[2:5], v1, s[2:3]
	s_wait_loadcnt_dscnt 0x101
	v_cmp_eq_f64_e32 vcc_lo, 0, v[6:7]
	s_wait_xcnt 0x0
	v_cmp_eq_f64_e64 s2, 0, v[8:9]
	s_and_b32 s4, vcc_lo, s2
	s_mov_b32 s2, -1
	s_and_saveexec_b32 s3, s4
	s_cbranch_execz .LBB39_2
; %bb.1:
	s_wait_loadcnt_dscnt 0x0
	v_cmp_neq_f64_e32 vcc_lo, 1.0, v[2:3]
	v_cmp_neq_f64_e64 s2, 0, v[4:5]
	s_or_b32 s2, vcc_lo, s2
	s_delay_alu instid0(SALU_CYCLE_1)
	s_or_not1_b32 s2, s2, exec_lo
.LBB39_2:
	s_or_b32 exec_lo, exec_lo, s3
	s_and_saveexec_b32 s3, s2
	s_cbranch_execz .LBB39_22
; %bb.3:
	s_load_b96 s[16:18], s[0:1], 0x4
	s_bfe_u32 s2, ttmp6, 0x4000c
	s_and_b32 s3, ttmp6, 15
	s_add_co_i32 s2, s2, 1
	s_mov_b32 s20, 0
	s_mul_i32 s4, ttmp9, s2
	s_getreg_b32 s2, hwreg(HW_REG_IB_STS2, 6, 4)
	s_add_co_i32 s3, s3, s4
	s_cmp_eq_u32 s2, 0
	s_mov_b32 s11, 0
	s_cselect_b32 s10, ttmp9, s3
	s_wait_kmcnt 0x0
	s_cmp_lt_i32 s10, s17
	s_cselect_b32 s7, -1, 0
	s_cmp_ge_i32 s10, s17
	s_cbranch_scc1 .LBB39_5
; %bb.4:
	s_load_b64 s[4:5], s[0:1], 0x20
	s_ashr_i32 s11, s10, 31
	s_delay_alu instid0(SALU_CYCLE_1)
	s_lshl_b64 s[12:13], s[10:11], 2
	s_wait_kmcnt 0x0
	s_add_nc_u64 s[4:5], s[4:5], s[12:13]
	s_load_b64 s[12:13], s[4:5], 0x0
	s_wait_kmcnt 0x0
	s_sub_co_i32 s20, s12, s6
	s_sub_co_i32 s11, s13, s6
.LBB39_5:
	s_bfe_u32 s3, ttmp6, 0x40010
	s_bfe_u32 s4, ttmp6, 0x40004
	s_add_co_i32 s3, s3, 1
	v_bfe_u32 v10, v0, 10, 10
	s_mul_i32 s3, ttmp7, s3
	v_and_b32_e32 v22, 0x3ff, v0
	s_add_co_i32 s4, s4, s3
	s_cmp_eq_u32 s2, 0
	v_mov_b64_e32 v[0:1], 0
	s_cselect_b32 s2, ttmp7, s4
	v_mov_b64_e32 v[16:17], 0
	v_lshl_add_u32 v14, s2, 4, v10
	v_cmp_gt_u32_e64 s3, 2, v22
	s_cmp_ge_i32 s20, s11
	v_ashrrev_i32_e32 v15, 31, v14
	v_cmp_gt_i32_e64 s2, s18, v14
	s_cbranch_scc1 .LBB39_17
; %bb.6:
	v_mul_u64_e32 v[12:13], s[8:9], v[14:15]
	s_clause 0x1
	s_load_b64 s[22:23], s[0:1], 0x40
	s_load_b128 s[12:15], s[0:1], 0x28
	v_dual_lshlrev_b32 v11, 1, v10 :: v_dual_lshlrev_b32 v24, 5, v10
	v_cmp_ne_u32_e32 vcc_lo, 0, v22
	v_cmp_eq_u32_e64 s4, 0, v10
	s_xor_b32 s5, s2, -1
	v_add_lshl_u32 v26, v11, v22, 4
	v_mov_b64_e32 v[0:1], 0
	s_or_b32 s17, vcc_lo, s5
	s_and_b32 s18, s3, s4
	s_cmp_lg_u32 s16, 0x6f
	v_mov_b64_e32 v[16:17], 0
	s_cselect_b32 s16, -1, 0
	s_ashr_i32 s21, s20, 31
	v_lshl_add_u32 v23, v22, 4, 0x200
	v_lshl_add_u32 v25, s20, 1, v22
	v_dual_mov_b32 v10, 0 :: v_dual_add_nc_u32 v27, 0x200, v26
	s_lshl_b64 s[4:5], s[20:21], 2
	s_wait_kmcnt 0x0
	v_lshl_add_u64 v[18:19], v[14:15], 4, s[22:23]
	s_add_nc_u64 s[4:5], s[12:13], s[4:5]
	v_lshl_add_u64 v[20:21], v[12:13], 4, s[22:23]
	s_branch .LBB39_8
.LBB39_7:                               ;   in Loop: Header=BB39_8 Depth=1
	s_or_b32 exec_lo, exec_lo, s12
	; wave barrier
	s_wait_loadcnt_dscnt 0x0
	ds_load_b128 v[28:31], v23
	ds_load_b128 v[32:35], v24
	s_add_co_i32 s20, s20, 1
	s_add_nc_u64 s[4:5], s[4:5], 4
	s_cmp_ge_i32 s20, s11
	s_wait_dscnt 0x0
	; wave barrier
	v_add_nc_u32_e32 v25, 2, v25
	v_fmac_f64_e32 v[16:17], v[28:29], v[32:33]
	v_fmac_f64_e32 v[0:1], v[30:31], v[32:33]
	s_delay_alu instid0(VALU_DEP_2) | instskip(NEXT) | instid1(VALU_DEP_2)
	v_fma_f64 v[16:17], -v[30:31], v[34:35], v[16:17]
	v_fmac_f64_e32 v[0:1], v[28:29], v[34:35]
	s_cbranch_scc1 .LBB39_17
.LBB39_8:                               ; =>This Inner Loop Header: Depth=1
	s_and_saveexec_b32 s12, s17
	s_delay_alu instid0(SALU_CYCLE_1)
	s_xor_b32 s12, exec_lo, s12
; %bb.9:                                ;   in Loop: Header=BB39_8 Depth=1
	v_dual_mov_b32 v11, v10 :: v_dual_mov_b32 v12, v10
	v_mov_b32_e32 v13, v10
	ds_store_b128 v26, v[10:13]
; %bb.10:                               ;   in Loop: Header=BB39_8 Depth=1
	s_and_not1_saveexec_b32 s19, s12
	s_cbranch_execz .LBB39_15
; %bb.11:                               ;   in Loop: Header=BB39_8 Depth=1
	s_load_b32 s12, s[4:5], 0x0
	s_mov_b32 s21, -1
	s_and_b32 vcc_lo, exec_lo, s16
	s_wait_kmcnt 0x0
	s_sub_co_i32 s12, s12, s6
	s_delay_alu instid0(SALU_CYCLE_1)
	s_ashr_i32 s13, s12, 31
	s_cbranch_vccz .LBB39_13
; %bb.12:                               ;   in Loop: Header=BB39_8 Depth=1
	s_mul_u64 s[22:23], s[8:9], s[12:13]
	s_mov_b32 s21, 0
	v_lshl_add_u64 v[12:13], s[22:23], 4, v[18:19]
	global_load_b128 v[28:31], v[12:13], off
	s_wait_loadcnt 0x0
	ds_store_2addr_b64 v26, v[28:29], v[30:31] offset1:1
.LBB39_13:                              ;   in Loop: Header=BB39_8 Depth=1
	s_and_not1_b32 vcc_lo, exec_lo, s21
	s_cbranch_vccnz .LBB39_15
; %bb.14:                               ;   in Loop: Header=BB39_8 Depth=1
	v_lshl_add_u64 v[12:13], s[12:13], 4, v[20:21]
	global_load_b128 v[28:31], v[12:13], off
	s_wait_loadcnt 0x0
	ds_store_2addr_b64 v26, v[28:29], v[30:31] offset1:1
.LBB39_15:                              ;   in Loop: Header=BB39_8 Depth=1
	s_or_b32 exec_lo, exec_lo, s19
	s_and_saveexec_b32 s12, s18
	s_cbranch_execz .LBB39_7
; %bb.16:                               ;   in Loop: Header=BB39_8 Depth=1
	global_load_b128 v[28:31], v25, s[14:15] scale_offset
	s_wait_loadcnt 0x0
	ds_store_2addr_b64 v27, v[28:29], v[30:31] offset1:1
	s_branch .LBB39_7
.LBB39_17:
	s_load_b64 s[4:5], s[0:1], 0x60
	s_and_b32 s2, s7, s2
	s_delay_alu instid0(SALU_CYCLE_1) | instskip(NEXT) | instid1(SALU_CYCLE_1)
	s_and_b32 s2, s2, s3
	s_and_b32 exec_lo, exec_lo, s2
	s_cbranch_execz .LBB39_22
; %bb.18:
	s_delay_alu instid0(VALU_DEP_1)
	v_mul_f64_e64 v[10:11], v[0:1], -v[8:9]
	v_mul_f64_e32 v[12:13], v[6:7], v[0:1]
	s_wait_xcnt 0x0
	s_load_b64 s[0:1], s[0:1], 0x68
	s_wait_loadcnt_dscnt 0x0
	v_cmp_neq_f64_e32 vcc_lo, 0, v[2:3]
	v_lshl_add_u32 v0, s10, 1, v22
	s_delay_alu instid0(VALU_DEP_1)
	v_ashrrev_i32_e32 v1, 31, v0
	s_wait_kmcnt 0x0
	v_mul_u64_e32 v[14:15], s[0:1], v[14:15]
	v_cmp_neq_f64_e64 s0, 0, v[4:5]
	v_fmac_f64_e32 v[10:11], v[6:7], v[16:17]
	v_fmac_f64_e32 v[12:13], v[8:9], v[16:17]
	s_delay_alu instid0(VALU_DEP_4) | instskip(SKIP_1) | instid1(SALU_CYCLE_1)
	v_lshl_add_u64 v[6:7], v[14:15], 4, s[4:5]
	s_or_b32 s0, vcc_lo, s0
	s_and_saveexec_b32 s1, s0
	s_delay_alu instid0(SALU_CYCLE_1)
	s_xor_b32 s0, exec_lo, s1
	s_cbranch_execz .LBB39_20
; %bb.19:
	v_lshl_add_u64 v[0:1], v[0:1], 4, v[6:7]
	global_load_b128 v[6:9], v[0:1], off
	s_wait_loadcnt 0x0
	v_fmac_f64_e32 v[10:11], v[2:3], v[6:7]
	v_fmac_f64_e32 v[12:13], v[4:5], v[6:7]
                                        ; implicit-def: $vgpr6_vgpr7
	s_delay_alu instid0(VALU_DEP_2) | instskip(NEXT) | instid1(VALU_DEP_2)
	v_fma_f64 v[10:11], -v[4:5], v[8:9], v[10:11]
	v_fmac_f64_e32 v[12:13], v[2:3], v[8:9]
	global_store_b128 v[0:1], v[10:13], off
                                        ; implicit-def: $vgpr0
                                        ; implicit-def: $vgpr10_vgpr11
.LBB39_20:
	s_wait_xcnt 0x0
	s_and_not1_saveexec_b32 s0, s0
	s_cbranch_execz .LBB39_22
; %bb.21:
	v_lshl_add_u64 v[0:1], v[0:1], 4, v[6:7]
	global_store_b128 v[0:1], v[10:13], off
.LBB39_22:
	s_endpgm
	.section	.rodata,"a",@progbits
	.p2align	6, 0x0
	.amdhsa_kernel _ZN9rocsparseL29gebsrmm_small_blockdim_kernelILi2ELi1ELi2ELi16E21rocsparse_complex_numIdEEEv20rocsparse_direction_20rocsparse_operation_iiNS_24const_host_device_scalarIT3_EEPKiS9_PKS6_iiSB_lS7_PS6_l21rocsparse_index_base_b
		.amdhsa_group_segment_fixed_size 576
		.amdhsa_private_segment_fixed_size 0
		.amdhsa_kernarg_size 120
		.amdhsa_user_sgpr_count 2
		.amdhsa_user_sgpr_dispatch_ptr 0
		.amdhsa_user_sgpr_queue_ptr 0
		.amdhsa_user_sgpr_kernarg_segment_ptr 1
		.amdhsa_user_sgpr_dispatch_id 0
		.amdhsa_user_sgpr_kernarg_preload_length 0
		.amdhsa_user_sgpr_kernarg_preload_offset 0
		.amdhsa_user_sgpr_private_segment_size 0
		.amdhsa_wavefront_size32 1
		.amdhsa_uses_dynamic_stack 0
		.amdhsa_enable_private_segment 0
		.amdhsa_system_sgpr_workgroup_id_x 1
		.amdhsa_system_sgpr_workgroup_id_y 1
		.amdhsa_system_sgpr_workgroup_id_z 0
		.amdhsa_system_sgpr_workgroup_info 0
		.amdhsa_system_vgpr_workitem_id 1
		.amdhsa_next_free_vgpr 36
		.amdhsa_next_free_sgpr 24
		.amdhsa_named_barrier_count 0
		.amdhsa_reserve_vcc 1
		.amdhsa_float_round_mode_32 0
		.amdhsa_float_round_mode_16_64 0
		.amdhsa_float_denorm_mode_32 3
		.amdhsa_float_denorm_mode_16_64 3
		.amdhsa_fp16_overflow 0
		.amdhsa_memory_ordered 1
		.amdhsa_forward_progress 1
		.amdhsa_inst_pref_size 9
		.amdhsa_round_robin_scheduling 0
		.amdhsa_exception_fp_ieee_invalid_op 0
		.amdhsa_exception_fp_denorm_src 0
		.amdhsa_exception_fp_ieee_div_zero 0
		.amdhsa_exception_fp_ieee_overflow 0
		.amdhsa_exception_fp_ieee_underflow 0
		.amdhsa_exception_fp_ieee_inexact 0
		.amdhsa_exception_int_div_zero 0
	.end_amdhsa_kernel
	.section	.text._ZN9rocsparseL29gebsrmm_small_blockdim_kernelILi2ELi1ELi2ELi16E21rocsparse_complex_numIdEEEv20rocsparse_direction_20rocsparse_operation_iiNS_24const_host_device_scalarIT3_EEPKiS9_PKS6_iiSB_lS7_PS6_l21rocsparse_index_base_b,"axG",@progbits,_ZN9rocsparseL29gebsrmm_small_blockdim_kernelILi2ELi1ELi2ELi16E21rocsparse_complex_numIdEEEv20rocsparse_direction_20rocsparse_operation_iiNS_24const_host_device_scalarIT3_EEPKiS9_PKS6_iiSB_lS7_PS6_l21rocsparse_index_base_b,comdat
.Lfunc_end39:
	.size	_ZN9rocsparseL29gebsrmm_small_blockdim_kernelILi2ELi1ELi2ELi16E21rocsparse_complex_numIdEEEv20rocsparse_direction_20rocsparse_operation_iiNS_24const_host_device_scalarIT3_EEPKiS9_PKS6_iiSB_lS7_PS6_l21rocsparse_index_base_b, .Lfunc_end39-_ZN9rocsparseL29gebsrmm_small_blockdim_kernelILi2ELi1ELi2ELi16E21rocsparse_complex_numIdEEEv20rocsparse_direction_20rocsparse_operation_iiNS_24const_host_device_scalarIT3_EEPKiS9_PKS6_iiSB_lS7_PS6_l21rocsparse_index_base_b
                                        ; -- End function
	.set _ZN9rocsparseL29gebsrmm_small_blockdim_kernelILi2ELi1ELi2ELi16E21rocsparse_complex_numIdEEEv20rocsparse_direction_20rocsparse_operation_iiNS_24const_host_device_scalarIT3_EEPKiS9_PKS6_iiSB_lS7_PS6_l21rocsparse_index_base_b.num_vgpr, 36
	.set _ZN9rocsparseL29gebsrmm_small_blockdim_kernelILi2ELi1ELi2ELi16E21rocsparse_complex_numIdEEEv20rocsparse_direction_20rocsparse_operation_iiNS_24const_host_device_scalarIT3_EEPKiS9_PKS6_iiSB_lS7_PS6_l21rocsparse_index_base_b.num_agpr, 0
	.set _ZN9rocsparseL29gebsrmm_small_blockdim_kernelILi2ELi1ELi2ELi16E21rocsparse_complex_numIdEEEv20rocsparse_direction_20rocsparse_operation_iiNS_24const_host_device_scalarIT3_EEPKiS9_PKS6_iiSB_lS7_PS6_l21rocsparse_index_base_b.numbered_sgpr, 24
	.set _ZN9rocsparseL29gebsrmm_small_blockdim_kernelILi2ELi1ELi2ELi16E21rocsparse_complex_numIdEEEv20rocsparse_direction_20rocsparse_operation_iiNS_24const_host_device_scalarIT3_EEPKiS9_PKS6_iiSB_lS7_PS6_l21rocsparse_index_base_b.num_named_barrier, 0
	.set _ZN9rocsparseL29gebsrmm_small_blockdim_kernelILi2ELi1ELi2ELi16E21rocsparse_complex_numIdEEEv20rocsparse_direction_20rocsparse_operation_iiNS_24const_host_device_scalarIT3_EEPKiS9_PKS6_iiSB_lS7_PS6_l21rocsparse_index_base_b.private_seg_size, 0
	.set _ZN9rocsparseL29gebsrmm_small_blockdim_kernelILi2ELi1ELi2ELi16E21rocsparse_complex_numIdEEEv20rocsparse_direction_20rocsparse_operation_iiNS_24const_host_device_scalarIT3_EEPKiS9_PKS6_iiSB_lS7_PS6_l21rocsparse_index_base_b.uses_vcc, 1
	.set _ZN9rocsparseL29gebsrmm_small_blockdim_kernelILi2ELi1ELi2ELi16E21rocsparse_complex_numIdEEEv20rocsparse_direction_20rocsparse_operation_iiNS_24const_host_device_scalarIT3_EEPKiS9_PKS6_iiSB_lS7_PS6_l21rocsparse_index_base_b.uses_flat_scratch, 0
	.set _ZN9rocsparseL29gebsrmm_small_blockdim_kernelILi2ELi1ELi2ELi16E21rocsparse_complex_numIdEEEv20rocsparse_direction_20rocsparse_operation_iiNS_24const_host_device_scalarIT3_EEPKiS9_PKS6_iiSB_lS7_PS6_l21rocsparse_index_base_b.has_dyn_sized_stack, 0
	.set _ZN9rocsparseL29gebsrmm_small_blockdim_kernelILi2ELi1ELi2ELi16E21rocsparse_complex_numIdEEEv20rocsparse_direction_20rocsparse_operation_iiNS_24const_host_device_scalarIT3_EEPKiS9_PKS6_iiSB_lS7_PS6_l21rocsparse_index_base_b.has_recursion, 0
	.set _ZN9rocsparseL29gebsrmm_small_blockdim_kernelILi2ELi1ELi2ELi16E21rocsparse_complex_numIdEEEv20rocsparse_direction_20rocsparse_operation_iiNS_24const_host_device_scalarIT3_EEPKiS9_PKS6_iiSB_lS7_PS6_l21rocsparse_index_base_b.has_indirect_call, 0
	.section	.AMDGPU.csdata,"",@progbits
; Kernel info:
; codeLenInByte = 1048
; TotalNumSgprs: 26
; NumVgprs: 36
; ScratchSize: 0
; MemoryBound: 0
; FloatMode: 240
; IeeeMode: 1
; LDSByteSize: 576 bytes/workgroup (compile time only)
; SGPRBlocks: 0
; VGPRBlocks: 2
; NumSGPRsForWavesPerEU: 26
; NumVGPRsForWavesPerEU: 36
; NamedBarCnt: 0
; Occupancy: 16
; WaveLimiterHint : 0
; COMPUTE_PGM_RSRC2:SCRATCH_EN: 0
; COMPUTE_PGM_RSRC2:USER_SGPR: 2
; COMPUTE_PGM_RSRC2:TRAP_HANDLER: 0
; COMPUTE_PGM_RSRC2:TGID_X_EN: 1
; COMPUTE_PGM_RSRC2:TGID_Y_EN: 1
; COMPUTE_PGM_RSRC2:TGID_Z_EN: 0
; COMPUTE_PGM_RSRC2:TIDIG_COMP_CNT: 1
	.section	.text._ZN9rocsparseL29gebsrmm_small_blockdim_kernelILi2ELi3ELi3ELi16E21rocsparse_complex_numIdEEEv20rocsparse_direction_20rocsparse_operation_iiNS_24const_host_device_scalarIT3_EEPKiS9_PKS6_iiSB_lS7_PS6_l21rocsparse_index_base_b,"axG",@progbits,_ZN9rocsparseL29gebsrmm_small_blockdim_kernelILi2ELi3ELi3ELi16E21rocsparse_complex_numIdEEEv20rocsparse_direction_20rocsparse_operation_iiNS_24const_host_device_scalarIT3_EEPKiS9_PKS6_iiSB_lS7_PS6_l21rocsparse_index_base_b,comdat
	.globl	_ZN9rocsparseL29gebsrmm_small_blockdim_kernelILi2ELi3ELi3ELi16E21rocsparse_complex_numIdEEEv20rocsparse_direction_20rocsparse_operation_iiNS_24const_host_device_scalarIT3_EEPKiS9_PKS6_iiSB_lS7_PS6_l21rocsparse_index_base_b ; -- Begin function _ZN9rocsparseL29gebsrmm_small_blockdim_kernelILi2ELi3ELi3ELi16E21rocsparse_complex_numIdEEEv20rocsparse_direction_20rocsparse_operation_iiNS_24const_host_device_scalarIT3_EEPKiS9_PKS6_iiSB_lS7_PS6_l21rocsparse_index_base_b
	.p2align	8
	.type	_ZN9rocsparseL29gebsrmm_small_blockdim_kernelILi2ELi3ELi3ELi16E21rocsparse_complex_numIdEEEv20rocsparse_direction_20rocsparse_operation_iiNS_24const_host_device_scalarIT3_EEPKiS9_PKS6_iiSB_lS7_PS6_l21rocsparse_index_base_b,@function
_ZN9rocsparseL29gebsrmm_small_blockdim_kernelILi2ELi3ELi3ELi16E21rocsparse_complex_numIdEEEv20rocsparse_direction_20rocsparse_operation_iiNS_24const_host_device_scalarIT3_EEPKiS9_PKS6_iiSB_lS7_PS6_l21rocsparse_index_base_b: ; @_ZN9rocsparseL29gebsrmm_small_blockdim_kernelILi2ELi3ELi3ELi16E21rocsparse_complex_numIdEEEv20rocsparse_direction_20rocsparse_operation_iiNS_24const_host_device_scalarIT3_EEPKiS9_PKS6_iiSB_lS7_PS6_l21rocsparse_index_base_b
; %bb.0:
	s_clause 0x1
	s_load_b64 s[6:7], s[0:1], 0x70
	s_load_b64 s[2:3], s[0:1], 0x10
	v_mov_b32_e32 v1, 0
	s_add_nc_u64 s[4:5], s[0:1], 16
	s_load_b128 s[8:11], s[0:1], 0x48
	s_wait_kmcnt 0x0
	s_bitcmp1_b32 s7, 0
	s_cselect_b32 s3, s5, s3
	s_cselect_b32 s2, s4, s2
	flat_load_b128 v[6:9], v1, s[2:3]
	s_wait_xcnt 0x0
	s_add_nc_u64 s[2:3], s[0:1], 0x50
	s_delay_alu instid0(SALU_CYCLE_1)
	s_cselect_b32 s3, s3, s11
	s_cselect_b32 s2, s2, s10
	flat_load_b128 v[2:5], v1, s[2:3]
	s_wait_loadcnt_dscnt 0x101
	v_cmp_eq_f64_e32 vcc_lo, 0, v[6:7]
	s_wait_xcnt 0x0
	v_cmp_eq_f64_e64 s2, 0, v[8:9]
	s_and_b32 s4, vcc_lo, s2
	s_mov_b32 s2, -1
	s_and_saveexec_b32 s3, s4
	s_cbranch_execz .LBB40_2
; %bb.1:
	s_wait_loadcnt_dscnt 0x0
	v_cmp_neq_f64_e32 vcc_lo, 1.0, v[2:3]
	v_cmp_neq_f64_e64 s2, 0, v[4:5]
	s_or_b32 s2, vcc_lo, s2
	s_delay_alu instid0(SALU_CYCLE_1)
	s_or_not1_b32 s2, s2, exec_lo
.LBB40_2:
	s_or_b32 exec_lo, exec_lo, s3
	s_and_saveexec_b32 s3, s2
	s_cbranch_execz .LBB40_22
; %bb.3:
	s_load_b128 s[16:19], s[0:1], 0x0
	s_bfe_u32 s2, ttmp6, 0x4000c
	s_and_b32 s3, ttmp6, 15
	s_add_co_i32 s2, s2, 1
	s_mov_b32 s20, 0
	s_mul_i32 s4, ttmp9, s2
	s_getreg_b32 s2, hwreg(HW_REG_IB_STS2, 6, 4)
	s_add_co_i32 s3, s3, s4
	s_cmp_eq_u32 s2, 0
	s_mov_b32 s11, 0
	s_cselect_b32 s10, ttmp9, s3
	s_wait_kmcnt 0x0
	s_cmp_lt_i32 s10, s18
	s_cselect_b32 s7, -1, 0
	s_cmp_ge_i32 s10, s18
	s_cbranch_scc1 .LBB40_5
; %bb.4:
	s_load_b64 s[4:5], s[0:1], 0x20
	s_ashr_i32 s11, s10, 31
	s_delay_alu instid0(SALU_CYCLE_1)
	s_lshl_b64 s[12:13], s[10:11], 2
	s_wait_kmcnt 0x0
	s_add_nc_u64 s[4:5], s[4:5], s[12:13]
	s_load_b64 s[12:13], s[4:5], 0x0
	s_wait_kmcnt 0x0
	s_sub_co_i32 s20, s12, s6
	s_sub_co_i32 s11, s13, s6
.LBB40_5:
	s_bfe_u32 s3, ttmp6, 0x40010
	s_bfe_u32 s4, ttmp6, 0x40004
	s_add_co_i32 s3, s3, 1
	v_bfe_u32 v11, v0, 10, 10
	s_mul_i32 s3, ttmp7, s3
	v_and_b32_e32 v22, 0x3ff, v0
	s_add_co_i32 s4, s4, s3
	s_cmp_eq_u32 s2, 0
	v_mov_b64_e32 v[0:1], 0
	s_cselect_b32 s2, ttmp7, s4
	v_mov_b64_e32 v[16:17], 0
	v_lshl_add_u32 v14, s2, 4, v11
	v_cmp_gt_u32_e64 s3, 2, v22
	s_cmp_ge_i32 s20, s11
	v_ashrrev_i32_e32 v15, 31, v14
	v_cmp_gt_i32_e64 s2, s19, v14
	s_cbranch_scc1 .LBB40_17
; %bb.6:
	v_mul_u64_e32 v[12:13], s[8:9], v[14:15]
	s_clause 0x1
	s_load_b128 s[12:15], s[0:1], 0x28
	s_load_b64 s[22:23], s[0:1], 0x40
	v_cmp_lt_u32_e32 vcc_lo, 2, v22
	v_cmp_gt_u32_e64 s4, 3, v11
	v_mad_u32_u24 v17, v11, 3, v22
	s_xor_b32 s5, s2, -1
	v_mul_u32_u24_e32 v27, 3, v11
	s_or_b32 s18, s5, vcc_lo
	s_and_b32 s19, s3, s4
	s_cmp_lg_u32 s17, 0x6f
	v_mad_u32_u24 v18, v22, 3, v11
	v_dual_sub_nc_u32 v11, v17, v11 :: v_dual_lshlrev_b32 v23, 4, v17
	s_cselect_b32 s17, -1, 0
	s_cmp_eq_u32 s16, 0
	v_dual_lshlrev_b32 v16, 4, v22 :: v_dual_mov_b32 v10, 0
	s_cselect_b32 vcc_lo, -1, 0
	v_mov_b64_e32 v[0:1], 0
	s_delay_alu instid0(VALU_DEP_2) | instskip(NEXT) | instid1(VALU_DEP_3)
	v_dual_cndmask_b32 v11, v11, v18 :: v_dual_add_nc_u32 v24, 0x300, v16
	v_mov_b32_e32 v17, v10
	s_ashr_i32 s21, s20, 31
	v_add_nc_u32_e32 v26, 0x300, v23
	s_delay_alu instid0(VALU_DEP_3) | instskip(SKIP_4) | instid1(SALU_CYCLE_1)
	v_mad_u32 v25, s20, 6, v11
	s_wait_kmcnt 0x0
	v_lshl_add_u64 v[18:19], v[14:15], 4, s[22:23]
	v_lshlrev_b32_e32 v27, 4, v27
	s_lshl_b64 s[4:5], s[20:21], 2
	s_add_nc_u64 s[4:5], s[12:13], s[4:5]
	v_lshl_add_u64 v[12:13], v[12:13], 4, s[22:23]
	s_delay_alu instid0(VALU_DEP_1)
	v_add_nc_u64_e32 v[20:21], v[12:13], v[16:17]
	v_mov_b64_e32 v[16:17], 0
	s_branch .LBB40_8
.LBB40_7:                               ;   in Loop: Header=BB40_8 Depth=1
	s_or_b32 exec_lo, exec_lo, s12
	s_wait_loadcnt_dscnt 0x0
	s_barrier_signal -1
	s_barrier_wait -1
	ds_load_b128 v[28:31], v27
	ds_load_b128 v[32:35], v24
	ds_load_b128 v[36:39], v24 offset:48
	ds_load_b128 v[40:43], v24 offset:96
	s_add_co_i32 s20, s20, 1
	s_add_nc_u64 s[4:5], s[4:5], 4
	s_cmp_ge_i32 s20, s11
	v_add_nc_u32_e32 v25, 6, v25
	s_wait_dscnt 0x2
	v_fmac_f64_e32 v[16:17], v[32:33], v[28:29]
	v_fmac_f64_e32 v[0:1], v[34:35], v[28:29]
	s_delay_alu instid0(VALU_DEP_2) | instskip(NEXT) | instid1(VALU_DEP_2)
	v_fma_f64 v[12:13], -v[34:35], v[30:31], v[16:17]
	v_fmac_f64_e32 v[0:1], v[32:33], v[30:31]
	ds_load_b128 v[28:31], v27 offset:16
	ds_load_b128 v[32:35], v27 offset:32
	s_wait_dscnt 0x0
	s_barrier_signal -1
	s_barrier_wait -1
	v_fmac_f64_e32 v[12:13], v[36:37], v[28:29]
	v_fmac_f64_e32 v[0:1], v[38:39], v[28:29]
	s_delay_alu instid0(VALU_DEP_2) | instskip(NEXT) | instid1(VALU_DEP_2)
	v_fma_f64 v[12:13], -v[38:39], v[30:31], v[12:13]
	v_fmac_f64_e32 v[0:1], v[36:37], v[30:31]
	s_delay_alu instid0(VALU_DEP_2) | instskip(NEXT) | instid1(VALU_DEP_2)
	v_fmac_f64_e32 v[12:13], v[40:41], v[32:33]
	v_fmac_f64_e32 v[0:1], v[42:43], v[32:33]
	s_delay_alu instid0(VALU_DEP_2) | instskip(NEXT) | instid1(VALU_DEP_2)
	v_fma_f64 v[16:17], -v[42:43], v[34:35], v[12:13]
	v_fmac_f64_e32 v[0:1], v[40:41], v[34:35]
	s_cbranch_scc1 .LBB40_17
.LBB40_8:                               ; =>This Inner Loop Header: Depth=1
	s_and_saveexec_b32 s12, s18
	s_delay_alu instid0(SALU_CYCLE_1)
	s_xor_b32 s12, exec_lo, s12
; %bb.9:                                ;   in Loop: Header=BB40_8 Depth=1
	v_dual_mov_b32 v11, v10 :: v_dual_mov_b32 v12, v10
	v_mov_b32_e32 v13, v10
	ds_store_b128 v23, v[10:13]
; %bb.10:                               ;   in Loop: Header=BB40_8 Depth=1
	s_and_not1_saveexec_b32 s16, s12
	s_cbranch_execz .LBB40_15
; %bb.11:                               ;   in Loop: Header=BB40_8 Depth=1
	s_load_b32 s12, s[4:5], 0x0
	s_mov_b32 s13, -1
	s_and_b32 vcc_lo, exec_lo, s17
	s_wait_kmcnt 0x0
	s_sub_co_i32 s12, s12, s6
	s_delay_alu instid0(SALU_CYCLE_1)
	s_mul_i32 s12, s12, 3
	s_cbranch_vccz .LBB40_13
; %bb.12:                               ;   in Loop: Header=BB40_8 Depth=1
	v_add_nc_u32_e32 v12, s12, v22
	s_mov_b32 s13, 0
	s_delay_alu instid0(VALU_DEP_1) | instskip(NEXT) | instid1(VALU_DEP_1)
	v_ashrrev_i32_e32 v13, 31, v12
	v_mul_u64_e32 v[12:13], s[8:9], v[12:13]
	s_delay_alu instid0(VALU_DEP_1)
	v_lshl_add_u64 v[12:13], v[12:13], 4, v[18:19]
	global_load_b128 v[28:31], v[12:13], off
	s_wait_loadcnt 0x0
	ds_store_2addr_b64 v23, v[28:29], v[30:31] offset1:1
.LBB40_13:                              ;   in Loop: Header=BB40_8 Depth=1
	s_and_not1_b32 vcc_lo, exec_lo, s13
	s_cbranch_vccnz .LBB40_15
; %bb.14:                               ;   in Loop: Header=BB40_8 Depth=1
	s_ashr_i32 s13, s12, 31
	s_delay_alu instid0(SALU_CYCLE_1)
	v_lshl_add_u64 v[12:13], s[12:13], 4, v[20:21]
	global_load_b128 v[28:31], v[12:13], off
	s_wait_loadcnt 0x0
	ds_store_2addr_b64 v23, v[28:29], v[30:31] offset1:1
.LBB40_15:                              ;   in Loop: Header=BB40_8 Depth=1
	s_or_b32 exec_lo, exec_lo, s16
	s_and_saveexec_b32 s12, s19
	s_cbranch_execz .LBB40_7
; %bb.16:                               ;   in Loop: Header=BB40_8 Depth=1
	global_load_b128 v[28:31], v25, s[14:15] scale_offset
	s_wait_loadcnt 0x0
	ds_store_2addr_b64 v26, v[28:29], v[30:31] offset1:1
	s_branch .LBB40_7
.LBB40_17:
	s_load_b64 s[4:5], s[0:1], 0x60
	s_and_b32 s2, s7, s2
	s_delay_alu instid0(SALU_CYCLE_1) | instskip(NEXT) | instid1(SALU_CYCLE_1)
	s_and_b32 s2, s2, s3
	s_and_b32 exec_lo, exec_lo, s2
	s_cbranch_execz .LBB40_22
; %bb.18:
	s_delay_alu instid0(VALU_DEP_1)
	v_mul_f64_e64 v[10:11], v[0:1], -v[8:9]
	v_mul_f64_e32 v[12:13], v[6:7], v[0:1]
	s_wait_xcnt 0x0
	s_load_b64 s[0:1], s[0:1], 0x68
	s_wait_loadcnt_dscnt 0x0
	v_cmp_neq_f64_e32 vcc_lo, 0, v[2:3]
	v_lshl_add_u32 v0, s10, 1, v22
	s_delay_alu instid0(VALU_DEP_1)
	v_ashrrev_i32_e32 v1, 31, v0
	s_wait_kmcnt 0x0
	v_mul_u64_e32 v[14:15], s[0:1], v[14:15]
	v_cmp_neq_f64_e64 s0, 0, v[4:5]
	v_fmac_f64_e32 v[10:11], v[6:7], v[16:17]
	v_fmac_f64_e32 v[12:13], v[8:9], v[16:17]
	s_delay_alu instid0(VALU_DEP_4) | instskip(SKIP_1) | instid1(SALU_CYCLE_1)
	v_lshl_add_u64 v[6:7], v[14:15], 4, s[4:5]
	s_or_b32 s0, vcc_lo, s0
	s_and_saveexec_b32 s1, s0
	s_delay_alu instid0(SALU_CYCLE_1)
	s_xor_b32 s0, exec_lo, s1
	s_cbranch_execz .LBB40_20
; %bb.19:
	v_lshl_add_u64 v[0:1], v[0:1], 4, v[6:7]
	global_load_b128 v[6:9], v[0:1], off
	s_wait_loadcnt 0x0
	v_fmac_f64_e32 v[10:11], v[2:3], v[6:7]
	v_fmac_f64_e32 v[12:13], v[4:5], v[6:7]
                                        ; implicit-def: $vgpr6_vgpr7
	s_delay_alu instid0(VALU_DEP_2) | instskip(NEXT) | instid1(VALU_DEP_2)
	v_fma_f64 v[10:11], -v[4:5], v[8:9], v[10:11]
	v_fmac_f64_e32 v[12:13], v[2:3], v[8:9]
	global_store_b128 v[0:1], v[10:13], off
                                        ; implicit-def: $vgpr0
                                        ; implicit-def: $vgpr10_vgpr11
.LBB40_20:
	s_wait_xcnt 0x0
	s_and_not1_saveexec_b32 s0, s0
	s_cbranch_execz .LBB40_22
; %bb.21:
	v_lshl_add_u64 v[0:1], v[0:1], 4, v[6:7]
	global_store_b128 v[0:1], v[10:13], off
.LBB40_22:
	s_endpgm
	.section	.rodata,"a",@progbits
	.p2align	6, 0x0
	.amdhsa_kernel _ZN9rocsparseL29gebsrmm_small_blockdim_kernelILi2ELi3ELi3ELi16E21rocsparse_complex_numIdEEEv20rocsparse_direction_20rocsparse_operation_iiNS_24const_host_device_scalarIT3_EEPKiS9_PKS6_iiSB_lS7_PS6_l21rocsparse_index_base_b
		.amdhsa_group_segment_fixed_size 912
		.amdhsa_private_segment_fixed_size 0
		.amdhsa_kernarg_size 120
		.amdhsa_user_sgpr_count 2
		.amdhsa_user_sgpr_dispatch_ptr 0
		.amdhsa_user_sgpr_queue_ptr 0
		.amdhsa_user_sgpr_kernarg_segment_ptr 1
		.amdhsa_user_sgpr_dispatch_id 0
		.amdhsa_user_sgpr_kernarg_preload_length 0
		.amdhsa_user_sgpr_kernarg_preload_offset 0
		.amdhsa_user_sgpr_private_segment_size 0
		.amdhsa_wavefront_size32 1
		.amdhsa_uses_dynamic_stack 0
		.amdhsa_enable_private_segment 0
		.amdhsa_system_sgpr_workgroup_id_x 1
		.amdhsa_system_sgpr_workgroup_id_y 1
		.amdhsa_system_sgpr_workgroup_id_z 0
		.amdhsa_system_sgpr_workgroup_info 0
		.amdhsa_system_vgpr_workitem_id 1
		.amdhsa_next_free_vgpr 44
		.amdhsa_next_free_sgpr 24
		.amdhsa_named_barrier_count 0
		.amdhsa_reserve_vcc 1
		.amdhsa_float_round_mode_32 0
		.amdhsa_float_round_mode_16_64 0
		.amdhsa_float_denorm_mode_32 3
		.amdhsa_float_denorm_mode_16_64 3
		.amdhsa_fp16_overflow 0
		.amdhsa_memory_ordered 1
		.amdhsa_forward_progress 1
		.amdhsa_inst_pref_size 10
		.amdhsa_round_robin_scheduling 0
		.amdhsa_exception_fp_ieee_invalid_op 0
		.amdhsa_exception_fp_denorm_src 0
		.amdhsa_exception_fp_ieee_div_zero 0
		.amdhsa_exception_fp_ieee_overflow 0
		.amdhsa_exception_fp_ieee_underflow 0
		.amdhsa_exception_fp_ieee_inexact 0
		.amdhsa_exception_int_div_zero 0
	.end_amdhsa_kernel
	.section	.text._ZN9rocsparseL29gebsrmm_small_blockdim_kernelILi2ELi3ELi3ELi16E21rocsparse_complex_numIdEEEv20rocsparse_direction_20rocsparse_operation_iiNS_24const_host_device_scalarIT3_EEPKiS9_PKS6_iiSB_lS7_PS6_l21rocsparse_index_base_b,"axG",@progbits,_ZN9rocsparseL29gebsrmm_small_blockdim_kernelILi2ELi3ELi3ELi16E21rocsparse_complex_numIdEEEv20rocsparse_direction_20rocsparse_operation_iiNS_24const_host_device_scalarIT3_EEPKiS9_PKS6_iiSB_lS7_PS6_l21rocsparse_index_base_b,comdat
.Lfunc_end40:
	.size	_ZN9rocsparseL29gebsrmm_small_blockdim_kernelILi2ELi3ELi3ELi16E21rocsparse_complex_numIdEEEv20rocsparse_direction_20rocsparse_operation_iiNS_24const_host_device_scalarIT3_EEPKiS9_PKS6_iiSB_lS7_PS6_l21rocsparse_index_base_b, .Lfunc_end40-_ZN9rocsparseL29gebsrmm_small_blockdim_kernelILi2ELi3ELi3ELi16E21rocsparse_complex_numIdEEEv20rocsparse_direction_20rocsparse_operation_iiNS_24const_host_device_scalarIT3_EEPKiS9_PKS6_iiSB_lS7_PS6_l21rocsparse_index_base_b
                                        ; -- End function
	.set _ZN9rocsparseL29gebsrmm_small_blockdim_kernelILi2ELi3ELi3ELi16E21rocsparse_complex_numIdEEEv20rocsparse_direction_20rocsparse_operation_iiNS_24const_host_device_scalarIT3_EEPKiS9_PKS6_iiSB_lS7_PS6_l21rocsparse_index_base_b.num_vgpr, 44
	.set _ZN9rocsparseL29gebsrmm_small_blockdim_kernelILi2ELi3ELi3ELi16E21rocsparse_complex_numIdEEEv20rocsparse_direction_20rocsparse_operation_iiNS_24const_host_device_scalarIT3_EEPKiS9_PKS6_iiSB_lS7_PS6_l21rocsparse_index_base_b.num_agpr, 0
	.set _ZN9rocsparseL29gebsrmm_small_blockdim_kernelILi2ELi3ELi3ELi16E21rocsparse_complex_numIdEEEv20rocsparse_direction_20rocsparse_operation_iiNS_24const_host_device_scalarIT3_EEPKiS9_PKS6_iiSB_lS7_PS6_l21rocsparse_index_base_b.numbered_sgpr, 24
	.set _ZN9rocsparseL29gebsrmm_small_blockdim_kernelILi2ELi3ELi3ELi16E21rocsparse_complex_numIdEEEv20rocsparse_direction_20rocsparse_operation_iiNS_24const_host_device_scalarIT3_EEPKiS9_PKS6_iiSB_lS7_PS6_l21rocsparse_index_base_b.num_named_barrier, 0
	.set _ZN9rocsparseL29gebsrmm_small_blockdim_kernelILi2ELi3ELi3ELi16E21rocsparse_complex_numIdEEEv20rocsparse_direction_20rocsparse_operation_iiNS_24const_host_device_scalarIT3_EEPKiS9_PKS6_iiSB_lS7_PS6_l21rocsparse_index_base_b.private_seg_size, 0
	.set _ZN9rocsparseL29gebsrmm_small_blockdim_kernelILi2ELi3ELi3ELi16E21rocsparse_complex_numIdEEEv20rocsparse_direction_20rocsparse_operation_iiNS_24const_host_device_scalarIT3_EEPKiS9_PKS6_iiSB_lS7_PS6_l21rocsparse_index_base_b.uses_vcc, 1
	.set _ZN9rocsparseL29gebsrmm_small_blockdim_kernelILi2ELi3ELi3ELi16E21rocsparse_complex_numIdEEEv20rocsparse_direction_20rocsparse_operation_iiNS_24const_host_device_scalarIT3_EEPKiS9_PKS6_iiSB_lS7_PS6_l21rocsparse_index_base_b.uses_flat_scratch, 0
	.set _ZN9rocsparseL29gebsrmm_small_blockdim_kernelILi2ELi3ELi3ELi16E21rocsparse_complex_numIdEEEv20rocsparse_direction_20rocsparse_operation_iiNS_24const_host_device_scalarIT3_EEPKiS9_PKS6_iiSB_lS7_PS6_l21rocsparse_index_base_b.has_dyn_sized_stack, 0
	.set _ZN9rocsparseL29gebsrmm_small_blockdim_kernelILi2ELi3ELi3ELi16E21rocsparse_complex_numIdEEEv20rocsparse_direction_20rocsparse_operation_iiNS_24const_host_device_scalarIT3_EEPKiS9_PKS6_iiSB_lS7_PS6_l21rocsparse_index_base_b.has_recursion, 0
	.set _ZN9rocsparseL29gebsrmm_small_blockdim_kernelILi2ELi3ELi3ELi16E21rocsparse_complex_numIdEEEv20rocsparse_direction_20rocsparse_operation_iiNS_24const_host_device_scalarIT3_EEPKiS9_PKS6_iiSB_lS7_PS6_l21rocsparse_index_base_b.has_indirect_call, 0
	.section	.AMDGPU.csdata,"",@progbits
; Kernel info:
; codeLenInByte = 1228
; TotalNumSgprs: 26
; NumVgprs: 44
; ScratchSize: 0
; MemoryBound: 0
; FloatMode: 240
; IeeeMode: 1
; LDSByteSize: 912 bytes/workgroup (compile time only)
; SGPRBlocks: 0
; VGPRBlocks: 2
; NumSGPRsForWavesPerEU: 26
; NumVGPRsForWavesPerEU: 44
; NamedBarCnt: 0
; Occupancy: 16
; WaveLimiterHint : 0
; COMPUTE_PGM_RSRC2:SCRATCH_EN: 0
; COMPUTE_PGM_RSRC2:USER_SGPR: 2
; COMPUTE_PGM_RSRC2:TRAP_HANDLER: 0
; COMPUTE_PGM_RSRC2:TGID_X_EN: 1
; COMPUTE_PGM_RSRC2:TGID_Y_EN: 1
; COMPUTE_PGM_RSRC2:TGID_Z_EN: 0
; COMPUTE_PGM_RSRC2:TIDIG_COMP_CNT: 1
	.section	.text._ZN9rocsparseL29gebsrmm_small_blockdim_kernelILi2ELi4ELi4ELi16E21rocsparse_complex_numIdEEEv20rocsparse_direction_20rocsparse_operation_iiNS_24const_host_device_scalarIT3_EEPKiS9_PKS6_iiSB_lS7_PS6_l21rocsparse_index_base_b,"axG",@progbits,_ZN9rocsparseL29gebsrmm_small_blockdim_kernelILi2ELi4ELi4ELi16E21rocsparse_complex_numIdEEEv20rocsparse_direction_20rocsparse_operation_iiNS_24const_host_device_scalarIT3_EEPKiS9_PKS6_iiSB_lS7_PS6_l21rocsparse_index_base_b,comdat
	.globl	_ZN9rocsparseL29gebsrmm_small_blockdim_kernelILi2ELi4ELi4ELi16E21rocsparse_complex_numIdEEEv20rocsparse_direction_20rocsparse_operation_iiNS_24const_host_device_scalarIT3_EEPKiS9_PKS6_iiSB_lS7_PS6_l21rocsparse_index_base_b ; -- Begin function _ZN9rocsparseL29gebsrmm_small_blockdim_kernelILi2ELi4ELi4ELi16E21rocsparse_complex_numIdEEEv20rocsparse_direction_20rocsparse_operation_iiNS_24const_host_device_scalarIT3_EEPKiS9_PKS6_iiSB_lS7_PS6_l21rocsparse_index_base_b
	.p2align	8
	.type	_ZN9rocsparseL29gebsrmm_small_blockdim_kernelILi2ELi4ELi4ELi16E21rocsparse_complex_numIdEEEv20rocsparse_direction_20rocsparse_operation_iiNS_24const_host_device_scalarIT3_EEPKiS9_PKS6_iiSB_lS7_PS6_l21rocsparse_index_base_b,@function
_ZN9rocsparseL29gebsrmm_small_blockdim_kernelILi2ELi4ELi4ELi16E21rocsparse_complex_numIdEEEv20rocsparse_direction_20rocsparse_operation_iiNS_24const_host_device_scalarIT3_EEPKiS9_PKS6_iiSB_lS7_PS6_l21rocsparse_index_base_b: ; @_ZN9rocsparseL29gebsrmm_small_blockdim_kernelILi2ELi4ELi4ELi16E21rocsparse_complex_numIdEEEv20rocsparse_direction_20rocsparse_operation_iiNS_24const_host_device_scalarIT3_EEPKiS9_PKS6_iiSB_lS7_PS6_l21rocsparse_index_base_b
; %bb.0:
	s_clause 0x1
	s_load_b64 s[6:7], s[0:1], 0x70
	s_load_b64 s[2:3], s[0:1], 0x10
	v_mov_b32_e32 v1, 0
	s_add_nc_u64 s[4:5], s[0:1], 16
	s_load_b128 s[8:11], s[0:1], 0x48
	s_wait_kmcnt 0x0
	s_bitcmp1_b32 s7, 0
	s_cselect_b32 s3, s5, s3
	s_cselect_b32 s2, s4, s2
	flat_load_b128 v[6:9], v1, s[2:3]
	s_wait_xcnt 0x0
	s_add_nc_u64 s[2:3], s[0:1], 0x50
	s_delay_alu instid0(SALU_CYCLE_1)
	s_cselect_b32 s3, s3, s11
	s_cselect_b32 s2, s2, s10
	flat_load_b128 v[2:5], v1, s[2:3]
	s_wait_loadcnt_dscnt 0x101
	v_cmp_eq_f64_e32 vcc_lo, 0, v[6:7]
	s_wait_xcnt 0x0
	v_cmp_eq_f64_e64 s2, 0, v[8:9]
	s_and_b32 s4, vcc_lo, s2
	s_mov_b32 s2, -1
	s_and_saveexec_b32 s3, s4
	s_cbranch_execz .LBB41_2
; %bb.1:
	s_wait_loadcnt_dscnt 0x0
	v_cmp_neq_f64_e32 vcc_lo, 1.0, v[2:3]
	v_cmp_neq_f64_e64 s2, 0, v[4:5]
	s_or_b32 s2, vcc_lo, s2
	s_delay_alu instid0(SALU_CYCLE_1)
	s_or_not1_b32 s2, s2, exec_lo
.LBB41_2:
	s_or_b32 exec_lo, exec_lo, s3
	s_and_saveexec_b32 s3, s2
	s_cbranch_execz .LBB41_22
; %bb.3:
	s_load_b128 s[16:19], s[0:1], 0x0
	s_bfe_u32 s2, ttmp6, 0x4000c
	s_and_b32 s3, ttmp6, 15
	s_add_co_i32 s2, s2, 1
	s_mov_b32 s20, 0
	s_mul_i32 s4, ttmp9, s2
	s_getreg_b32 s2, hwreg(HW_REG_IB_STS2, 6, 4)
	s_add_co_i32 s3, s3, s4
	s_cmp_eq_u32 s2, 0
	s_mov_b32 s11, 0
	s_cselect_b32 s10, ttmp9, s3
	s_wait_kmcnt 0x0
	s_cmp_lt_i32 s10, s18
	s_cselect_b32 s7, -1, 0
	s_cmp_ge_i32 s10, s18
	s_cbranch_scc1 .LBB41_5
; %bb.4:
	s_load_b64 s[4:5], s[0:1], 0x20
	s_ashr_i32 s11, s10, 31
	s_delay_alu instid0(SALU_CYCLE_1)
	s_lshl_b64 s[12:13], s[10:11], 2
	s_wait_kmcnt 0x0
	s_add_nc_u64 s[4:5], s[4:5], s[12:13]
	s_load_b64 s[12:13], s[4:5], 0x0
	s_wait_kmcnt 0x0
	s_sub_co_i32 s20, s12, s6
	s_sub_co_i32 s11, s13, s6
.LBB41_5:
	s_bfe_u32 s3, ttmp6, 0x40010
	s_bfe_u32 s4, ttmp6, 0x40004
	s_add_co_i32 s3, s3, 1
	v_bfe_u32 v11, v0, 10, 10
	s_mul_i32 s3, ttmp7, s3
	v_and_b32_e32 v22, 0x3ff, v0
	s_add_co_i32 s4, s4, s3
	s_cmp_eq_u32 s2, 0
	v_mov_b64_e32 v[0:1], 0
	s_cselect_b32 s2, ttmp7, s4
	v_mov_b64_e32 v[20:21], 0
	v_lshl_add_u32 v14, s2, 4, v11
	v_cmp_gt_u32_e64 s3, 2, v22
	s_cmp_ge_i32 s20, s11
	v_ashrrev_i32_e32 v15, 31, v14
	v_cmp_gt_i32_e64 s2, s19, v14
	s_cbranch_scc1 .LBB41_17
; %bb.6:
	v_mul_u64_e32 v[12:13], s[8:9], v[14:15]
	s_clause 0x1
	s_load_b128 s[12:15], s[0:1], 0x28
	s_load_b64 s[22:23], s[0:1], 0x40
	v_cmp_lt_u32_e32 vcc_lo, 3, v22
	v_cmp_gt_u32_e64 s4, 4, v11
	v_lshl_add_u32 v16, v11, 2, v22
	v_dual_lshlrev_b32 v17, 1, v11 :: v_dual_lshlrev_b32 v23, 6, v11
	s_xor_b32 s5, s2, -1
	v_dual_lshlrev_b32 v18, 4, v22 :: v_dual_mov_b32 v10, 0
	s_or_b32 s18, s5, vcc_lo
	s_and_b32 s19, s3, s4
	s_cmp_lg_u32 s17, 0x6f
	v_lshl_add_u32 v20, v22, 2, v11
	v_sub_nc_u32_e32 v11, v16, v17
	s_cselect_b32 s17, -1, 0
	s_cmp_eq_u32 s16, 0
	v_dual_mov_b32 v19, v10 :: v_dual_lshlrev_b32 v24, 4, v16
	s_cselect_b32 vcc_lo, -1, 0
	v_mov_b64_e32 v[0:1], 0
	v_cndmask_b32_e32 v11, v11, v20, vcc_lo
	v_add_nc_u32_e32 v25, 0x400, v18
	v_mov_b64_e32 v[20:21], 0
	s_ashr_i32 s21, s20, 31
	v_add_nc_u32_e32 v26, 0x400, v24
	s_wait_kmcnt 0x0
	v_lshl_add_u64 v[16:17], v[14:15], 4, s[22:23]
	v_lshl_add_u32 v27, s20, 3, v11
	s_lshl_b64 s[4:5], s[20:21], 2
	s_delay_alu instid0(SALU_CYCLE_1) | instskip(SKIP_1) | instid1(VALU_DEP_1)
	s_add_nc_u64 s[4:5], s[12:13], s[4:5]
	v_lshl_add_u64 v[12:13], v[12:13], 4, s[22:23]
	v_add_nc_u64_e32 v[18:19], v[12:13], v[18:19]
	s_branch .LBB41_8
.LBB41_7:                               ;   in Loop: Header=BB41_8 Depth=1
	s_or_b32 exec_lo, exec_lo, s12
	s_wait_loadcnt_dscnt 0x0
	s_barrier_signal -1
	s_barrier_wait -1
	ds_load_b128 v[28:31], v25
	ds_load_b128 v[32:35], v23
	ds_load_b128 v[36:39], v23 offset:16
	ds_load_b128 v[40:43], v25 offset:64
	v_add_nc_u32_e32 v27, 8, v27
	s_add_co_i32 s20, s20, 1
	s_add_nc_u64 s[4:5], s[4:5], 4
	s_cmp_ge_i32 s20, s11
	s_wait_dscnt 0x2
	v_fmac_f64_e32 v[20:21], v[28:29], v[32:33]
	v_fmac_f64_e32 v[0:1], v[30:31], v[32:33]
	s_delay_alu instid0(VALU_DEP_2) | instskip(NEXT) | instid1(VALU_DEP_2)
	v_fma_f64 v[12:13], -v[30:31], v[34:35], v[20:21]
	v_fmac_f64_e32 v[0:1], v[28:29], v[34:35]
	s_wait_dscnt 0x0
	s_delay_alu instid0(VALU_DEP_2) | instskip(NEXT) | instid1(VALU_DEP_2)
	v_fmac_f64_e32 v[12:13], v[40:41], v[36:37]
	v_fmac_f64_e32 v[0:1], v[42:43], v[36:37]
	s_delay_alu instid0(VALU_DEP_2) | instskip(NEXT) | instid1(VALU_DEP_2)
	v_fma_f64 v[12:13], -v[42:43], v[38:39], v[12:13]
	v_fmac_f64_e32 v[0:1], v[40:41], v[38:39]
	ds_load_b128 v[28:31], v25 offset:128
	ds_load_b128 v[32:35], v23 offset:32
	;; [unrolled: 1-line block ×4, first 2 shown]
	s_wait_dscnt 0x0
	s_barrier_signal -1
	s_barrier_wait -1
	v_fmac_f64_e32 v[12:13], v[28:29], v[32:33]
	v_fmac_f64_e32 v[0:1], v[30:31], v[32:33]
	s_delay_alu instid0(VALU_DEP_2) | instskip(NEXT) | instid1(VALU_DEP_2)
	v_fma_f64 v[12:13], -v[30:31], v[34:35], v[12:13]
	v_fmac_f64_e32 v[0:1], v[28:29], v[34:35]
	s_delay_alu instid0(VALU_DEP_2) | instskip(NEXT) | instid1(VALU_DEP_2)
	v_fmac_f64_e32 v[12:13], v[40:41], v[36:37]
	v_fmac_f64_e32 v[0:1], v[42:43], v[36:37]
	s_delay_alu instid0(VALU_DEP_2) | instskip(NEXT) | instid1(VALU_DEP_2)
	v_fma_f64 v[20:21], -v[42:43], v[38:39], v[12:13]
	v_fmac_f64_e32 v[0:1], v[40:41], v[38:39]
	s_cbranch_scc1 .LBB41_17
.LBB41_8:                               ; =>This Inner Loop Header: Depth=1
	s_and_saveexec_b32 s12, s18
	s_delay_alu instid0(SALU_CYCLE_1)
	s_xor_b32 s12, exec_lo, s12
; %bb.9:                                ;   in Loop: Header=BB41_8 Depth=1
	v_dual_mov_b32 v11, v10 :: v_dual_mov_b32 v12, v10
	v_mov_b32_e32 v13, v10
	ds_store_b128 v24, v[10:13]
; %bb.10:                               ;   in Loop: Header=BB41_8 Depth=1
	s_and_not1_saveexec_b32 s16, s12
	s_cbranch_execz .LBB41_15
; %bb.11:                               ;   in Loop: Header=BB41_8 Depth=1
	s_load_b32 s12, s[4:5], 0x0
	s_mov_b32 s13, -1
	s_and_b32 vcc_lo, exec_lo, s17
	s_wait_kmcnt 0x0
	s_sub_co_i32 s12, s12, s6
	s_delay_alu instid0(SALU_CYCLE_1)
	s_lshl_b32 s12, s12, 2
	s_cbranch_vccz .LBB41_13
; %bb.12:                               ;   in Loop: Header=BB41_8 Depth=1
	v_or_b32_e32 v12, s12, v22
	s_mov_b32 s13, 0
	s_delay_alu instid0(VALU_DEP_1) | instskip(NEXT) | instid1(VALU_DEP_1)
	v_ashrrev_i32_e32 v13, 31, v12
	v_mul_u64_e32 v[12:13], s[8:9], v[12:13]
	s_delay_alu instid0(VALU_DEP_1)
	v_lshl_add_u64 v[12:13], v[12:13], 4, v[16:17]
	global_load_b128 v[28:31], v[12:13], off
	s_wait_loadcnt 0x0
	ds_store_2addr_b64 v24, v[28:29], v[30:31] offset1:1
.LBB41_13:                              ;   in Loop: Header=BB41_8 Depth=1
	s_and_not1_b32 vcc_lo, exec_lo, s13
	s_cbranch_vccnz .LBB41_15
; %bb.14:                               ;   in Loop: Header=BB41_8 Depth=1
	s_ashr_i32 s13, s12, 31
	s_delay_alu instid0(SALU_CYCLE_1)
	v_lshl_add_u64 v[12:13], s[12:13], 4, v[18:19]
	global_load_b128 v[28:31], v[12:13], off
	s_wait_loadcnt 0x0
	ds_store_2addr_b64 v24, v[28:29], v[30:31] offset1:1
.LBB41_15:                              ;   in Loop: Header=BB41_8 Depth=1
	s_or_b32 exec_lo, exec_lo, s16
	s_and_saveexec_b32 s12, s19
	s_cbranch_execz .LBB41_7
; %bb.16:                               ;   in Loop: Header=BB41_8 Depth=1
	global_load_b128 v[28:31], v27, s[14:15] scale_offset
	s_wait_loadcnt 0x0
	ds_store_2addr_b64 v26, v[28:29], v[30:31] offset1:1
	s_branch .LBB41_7
.LBB41_17:
	s_load_b64 s[4:5], s[0:1], 0x60
	s_and_b32 s2, s7, s2
	s_delay_alu instid0(SALU_CYCLE_1) | instskip(NEXT) | instid1(SALU_CYCLE_1)
	s_and_b32 s2, s2, s3
	s_and_b32 exec_lo, exec_lo, s2
	s_cbranch_execz .LBB41_22
; %bb.18:
	s_delay_alu instid0(VALU_DEP_1)
	v_mul_f64_e64 v[10:11], v[0:1], -v[8:9]
	v_mul_f64_e32 v[12:13], v[6:7], v[0:1]
	s_wait_xcnt 0x0
	s_load_b64 s[0:1], s[0:1], 0x68
	s_wait_loadcnt_dscnt 0x0
	v_cmp_neq_f64_e32 vcc_lo, 0, v[2:3]
	v_lshl_add_u32 v0, s10, 1, v22
	s_delay_alu instid0(VALU_DEP_1)
	v_ashrrev_i32_e32 v1, 31, v0
	s_wait_kmcnt 0x0
	v_mul_u64_e32 v[14:15], s[0:1], v[14:15]
	v_cmp_neq_f64_e64 s0, 0, v[4:5]
	v_fmac_f64_e32 v[10:11], v[6:7], v[20:21]
	v_fmac_f64_e32 v[12:13], v[8:9], v[20:21]
	s_delay_alu instid0(VALU_DEP_4) | instskip(SKIP_1) | instid1(SALU_CYCLE_1)
	v_lshl_add_u64 v[6:7], v[14:15], 4, s[4:5]
	s_or_b32 s0, vcc_lo, s0
	s_and_saveexec_b32 s1, s0
	s_delay_alu instid0(SALU_CYCLE_1)
	s_xor_b32 s0, exec_lo, s1
	s_cbranch_execz .LBB41_20
; %bb.19:
	v_lshl_add_u64 v[0:1], v[0:1], 4, v[6:7]
	global_load_b128 v[6:9], v[0:1], off
	s_wait_loadcnt 0x0
	v_fmac_f64_e32 v[10:11], v[2:3], v[6:7]
	v_fmac_f64_e32 v[12:13], v[4:5], v[6:7]
                                        ; implicit-def: $vgpr6_vgpr7
	s_delay_alu instid0(VALU_DEP_2) | instskip(NEXT) | instid1(VALU_DEP_2)
	v_fma_f64 v[10:11], -v[4:5], v[8:9], v[10:11]
	v_fmac_f64_e32 v[12:13], v[2:3], v[8:9]
	global_store_b128 v[0:1], v[10:13], off
                                        ; implicit-def: $vgpr0
                                        ; implicit-def: $vgpr10_vgpr11
.LBB41_20:
	s_wait_xcnt 0x0
	s_and_not1_saveexec_b32 s0, s0
	s_cbranch_execz .LBB41_22
; %bb.21:
	v_lshl_add_u64 v[0:1], v[0:1], 4, v[6:7]
	global_store_b128 v[0:1], v[10:13], off
.LBB41_22:
	s_endpgm
	.section	.rodata,"a",@progbits
	.p2align	6, 0x0
	.amdhsa_kernel _ZN9rocsparseL29gebsrmm_small_blockdim_kernelILi2ELi4ELi4ELi16E21rocsparse_complex_numIdEEEv20rocsparse_direction_20rocsparse_operation_iiNS_24const_host_device_scalarIT3_EEPKiS9_PKS6_iiSB_lS7_PS6_l21rocsparse_index_base_b
		.amdhsa_group_segment_fixed_size 1280
		.amdhsa_private_segment_fixed_size 0
		.amdhsa_kernarg_size 120
		.amdhsa_user_sgpr_count 2
		.amdhsa_user_sgpr_dispatch_ptr 0
		.amdhsa_user_sgpr_queue_ptr 0
		.amdhsa_user_sgpr_kernarg_segment_ptr 1
		.amdhsa_user_sgpr_dispatch_id 0
		.amdhsa_user_sgpr_kernarg_preload_length 0
		.amdhsa_user_sgpr_kernarg_preload_offset 0
		.amdhsa_user_sgpr_private_segment_size 0
		.amdhsa_wavefront_size32 1
		.amdhsa_uses_dynamic_stack 0
		.amdhsa_enable_private_segment 0
		.amdhsa_system_sgpr_workgroup_id_x 1
		.amdhsa_system_sgpr_workgroup_id_y 1
		.amdhsa_system_sgpr_workgroup_id_z 0
		.amdhsa_system_sgpr_workgroup_info 0
		.amdhsa_system_vgpr_workitem_id 1
		.amdhsa_next_free_vgpr 44
		.amdhsa_next_free_sgpr 24
		.amdhsa_named_barrier_count 0
		.amdhsa_reserve_vcc 1
		.amdhsa_float_round_mode_32 0
		.amdhsa_float_round_mode_16_64 0
		.amdhsa_float_denorm_mode_32 3
		.amdhsa_float_denorm_mode_16_64 3
		.amdhsa_fp16_overflow 0
		.amdhsa_memory_ordered 1
		.amdhsa_forward_progress 1
		.amdhsa_inst_pref_size 10
		.amdhsa_round_robin_scheduling 0
		.amdhsa_exception_fp_ieee_invalid_op 0
		.amdhsa_exception_fp_denorm_src 0
		.amdhsa_exception_fp_ieee_div_zero 0
		.amdhsa_exception_fp_ieee_overflow 0
		.amdhsa_exception_fp_ieee_underflow 0
		.amdhsa_exception_fp_ieee_inexact 0
		.amdhsa_exception_int_div_zero 0
	.end_amdhsa_kernel
	.section	.text._ZN9rocsparseL29gebsrmm_small_blockdim_kernelILi2ELi4ELi4ELi16E21rocsparse_complex_numIdEEEv20rocsparse_direction_20rocsparse_operation_iiNS_24const_host_device_scalarIT3_EEPKiS9_PKS6_iiSB_lS7_PS6_l21rocsparse_index_base_b,"axG",@progbits,_ZN9rocsparseL29gebsrmm_small_blockdim_kernelILi2ELi4ELi4ELi16E21rocsparse_complex_numIdEEEv20rocsparse_direction_20rocsparse_operation_iiNS_24const_host_device_scalarIT3_EEPKiS9_PKS6_iiSB_lS7_PS6_l21rocsparse_index_base_b,comdat
.Lfunc_end41:
	.size	_ZN9rocsparseL29gebsrmm_small_blockdim_kernelILi2ELi4ELi4ELi16E21rocsparse_complex_numIdEEEv20rocsparse_direction_20rocsparse_operation_iiNS_24const_host_device_scalarIT3_EEPKiS9_PKS6_iiSB_lS7_PS6_l21rocsparse_index_base_b, .Lfunc_end41-_ZN9rocsparseL29gebsrmm_small_blockdim_kernelILi2ELi4ELi4ELi16E21rocsparse_complex_numIdEEEv20rocsparse_direction_20rocsparse_operation_iiNS_24const_host_device_scalarIT3_EEPKiS9_PKS6_iiSB_lS7_PS6_l21rocsparse_index_base_b
                                        ; -- End function
	.set _ZN9rocsparseL29gebsrmm_small_blockdim_kernelILi2ELi4ELi4ELi16E21rocsparse_complex_numIdEEEv20rocsparse_direction_20rocsparse_operation_iiNS_24const_host_device_scalarIT3_EEPKiS9_PKS6_iiSB_lS7_PS6_l21rocsparse_index_base_b.num_vgpr, 44
	.set _ZN9rocsparseL29gebsrmm_small_blockdim_kernelILi2ELi4ELi4ELi16E21rocsparse_complex_numIdEEEv20rocsparse_direction_20rocsparse_operation_iiNS_24const_host_device_scalarIT3_EEPKiS9_PKS6_iiSB_lS7_PS6_l21rocsparse_index_base_b.num_agpr, 0
	.set _ZN9rocsparseL29gebsrmm_small_blockdim_kernelILi2ELi4ELi4ELi16E21rocsparse_complex_numIdEEEv20rocsparse_direction_20rocsparse_operation_iiNS_24const_host_device_scalarIT3_EEPKiS9_PKS6_iiSB_lS7_PS6_l21rocsparse_index_base_b.numbered_sgpr, 24
	.set _ZN9rocsparseL29gebsrmm_small_blockdim_kernelILi2ELi4ELi4ELi16E21rocsparse_complex_numIdEEEv20rocsparse_direction_20rocsparse_operation_iiNS_24const_host_device_scalarIT3_EEPKiS9_PKS6_iiSB_lS7_PS6_l21rocsparse_index_base_b.num_named_barrier, 0
	.set _ZN9rocsparseL29gebsrmm_small_blockdim_kernelILi2ELi4ELi4ELi16E21rocsparse_complex_numIdEEEv20rocsparse_direction_20rocsparse_operation_iiNS_24const_host_device_scalarIT3_EEPKiS9_PKS6_iiSB_lS7_PS6_l21rocsparse_index_base_b.private_seg_size, 0
	.set _ZN9rocsparseL29gebsrmm_small_blockdim_kernelILi2ELi4ELi4ELi16E21rocsparse_complex_numIdEEEv20rocsparse_direction_20rocsparse_operation_iiNS_24const_host_device_scalarIT3_EEPKiS9_PKS6_iiSB_lS7_PS6_l21rocsparse_index_base_b.uses_vcc, 1
	.set _ZN9rocsparseL29gebsrmm_small_blockdim_kernelILi2ELi4ELi4ELi16E21rocsparse_complex_numIdEEEv20rocsparse_direction_20rocsparse_operation_iiNS_24const_host_device_scalarIT3_EEPKiS9_PKS6_iiSB_lS7_PS6_l21rocsparse_index_base_b.uses_flat_scratch, 0
	.set _ZN9rocsparseL29gebsrmm_small_blockdim_kernelILi2ELi4ELi4ELi16E21rocsparse_complex_numIdEEEv20rocsparse_direction_20rocsparse_operation_iiNS_24const_host_device_scalarIT3_EEPKiS9_PKS6_iiSB_lS7_PS6_l21rocsparse_index_base_b.has_dyn_sized_stack, 0
	.set _ZN9rocsparseL29gebsrmm_small_blockdim_kernelILi2ELi4ELi4ELi16E21rocsparse_complex_numIdEEEv20rocsparse_direction_20rocsparse_operation_iiNS_24const_host_device_scalarIT3_EEPKiS9_PKS6_iiSB_lS7_PS6_l21rocsparse_index_base_b.has_recursion, 0
	.set _ZN9rocsparseL29gebsrmm_small_blockdim_kernelILi2ELi4ELi4ELi16E21rocsparse_complex_numIdEEEv20rocsparse_direction_20rocsparse_operation_iiNS_24const_host_device_scalarIT3_EEPKiS9_PKS6_iiSB_lS7_PS6_l21rocsparse_index_base_b.has_indirect_call, 0
	.section	.AMDGPU.csdata,"",@progbits
; Kernel info:
; codeLenInByte = 1268
; TotalNumSgprs: 26
; NumVgprs: 44
; ScratchSize: 0
; MemoryBound: 0
; FloatMode: 240
; IeeeMode: 1
; LDSByteSize: 1280 bytes/workgroup (compile time only)
; SGPRBlocks: 0
; VGPRBlocks: 2
; NumSGPRsForWavesPerEU: 26
; NumVGPRsForWavesPerEU: 44
; NamedBarCnt: 0
; Occupancy: 16
; WaveLimiterHint : 0
; COMPUTE_PGM_RSRC2:SCRATCH_EN: 0
; COMPUTE_PGM_RSRC2:USER_SGPR: 2
; COMPUTE_PGM_RSRC2:TRAP_HANDLER: 0
; COMPUTE_PGM_RSRC2:TGID_X_EN: 1
; COMPUTE_PGM_RSRC2:TGID_Y_EN: 1
; COMPUTE_PGM_RSRC2:TGID_Z_EN: 0
; COMPUTE_PGM_RSRC2:TIDIG_COMP_CNT: 1
	.section	.text._ZN9rocsparseL29gebsrmm_small_blockdim_kernelILi3ELi1ELi3ELi16E21rocsparse_complex_numIdEEEv20rocsparse_direction_20rocsparse_operation_iiNS_24const_host_device_scalarIT3_EEPKiS9_PKS6_iiSB_lS7_PS6_l21rocsparse_index_base_b,"axG",@progbits,_ZN9rocsparseL29gebsrmm_small_blockdim_kernelILi3ELi1ELi3ELi16E21rocsparse_complex_numIdEEEv20rocsparse_direction_20rocsparse_operation_iiNS_24const_host_device_scalarIT3_EEPKiS9_PKS6_iiSB_lS7_PS6_l21rocsparse_index_base_b,comdat
	.globl	_ZN9rocsparseL29gebsrmm_small_blockdim_kernelILi3ELi1ELi3ELi16E21rocsparse_complex_numIdEEEv20rocsparse_direction_20rocsparse_operation_iiNS_24const_host_device_scalarIT3_EEPKiS9_PKS6_iiSB_lS7_PS6_l21rocsparse_index_base_b ; -- Begin function _ZN9rocsparseL29gebsrmm_small_blockdim_kernelILi3ELi1ELi3ELi16E21rocsparse_complex_numIdEEEv20rocsparse_direction_20rocsparse_operation_iiNS_24const_host_device_scalarIT3_EEPKiS9_PKS6_iiSB_lS7_PS6_l21rocsparse_index_base_b
	.p2align	8
	.type	_ZN9rocsparseL29gebsrmm_small_blockdim_kernelILi3ELi1ELi3ELi16E21rocsparse_complex_numIdEEEv20rocsparse_direction_20rocsparse_operation_iiNS_24const_host_device_scalarIT3_EEPKiS9_PKS6_iiSB_lS7_PS6_l21rocsparse_index_base_b,@function
_ZN9rocsparseL29gebsrmm_small_blockdim_kernelILi3ELi1ELi3ELi16E21rocsparse_complex_numIdEEEv20rocsparse_direction_20rocsparse_operation_iiNS_24const_host_device_scalarIT3_EEPKiS9_PKS6_iiSB_lS7_PS6_l21rocsparse_index_base_b: ; @_ZN9rocsparseL29gebsrmm_small_blockdim_kernelILi3ELi1ELi3ELi16E21rocsparse_complex_numIdEEEv20rocsparse_direction_20rocsparse_operation_iiNS_24const_host_device_scalarIT3_EEPKiS9_PKS6_iiSB_lS7_PS6_l21rocsparse_index_base_b
; %bb.0:
	s_clause 0x1
	s_load_b64 s[6:7], s[0:1], 0x70
	s_load_b64 s[2:3], s[0:1], 0x10
	v_mov_b32_e32 v1, 0
	s_add_nc_u64 s[4:5], s[0:1], 16
	s_load_b128 s[8:11], s[0:1], 0x48
	s_wait_kmcnt 0x0
	s_bitcmp1_b32 s7, 0
	s_cselect_b32 s3, s5, s3
	s_cselect_b32 s2, s4, s2
	flat_load_b128 v[6:9], v1, s[2:3]
	s_wait_xcnt 0x0
	s_add_nc_u64 s[2:3], s[0:1], 0x50
	s_delay_alu instid0(SALU_CYCLE_1)
	s_cselect_b32 s3, s3, s11
	s_cselect_b32 s2, s2, s10
	flat_load_b128 v[2:5], v1, s[2:3]
	s_wait_loadcnt_dscnt 0x101
	v_cmp_eq_f64_e32 vcc_lo, 0, v[6:7]
	s_wait_xcnt 0x0
	v_cmp_eq_f64_e64 s2, 0, v[8:9]
	s_and_b32 s4, vcc_lo, s2
	s_mov_b32 s2, -1
	s_and_saveexec_b32 s3, s4
	s_cbranch_execz .LBB42_2
; %bb.1:
	s_wait_loadcnt_dscnt 0x0
	v_cmp_neq_f64_e32 vcc_lo, 1.0, v[2:3]
	v_cmp_neq_f64_e64 s2, 0, v[4:5]
	s_or_b32 s2, vcc_lo, s2
	s_delay_alu instid0(SALU_CYCLE_1)
	s_or_not1_b32 s2, s2, exec_lo
.LBB42_2:
	s_or_b32 exec_lo, exec_lo, s3
	s_and_saveexec_b32 s3, s2
	s_cbranch_execz .LBB42_22
; %bb.3:
	s_load_b96 s[16:18], s[0:1], 0x4
	s_bfe_u32 s2, ttmp6, 0x4000c
	s_and_b32 s3, ttmp6, 15
	s_add_co_i32 s2, s2, 1
	s_mov_b32 s20, 0
	s_mul_i32 s4, ttmp9, s2
	s_getreg_b32 s2, hwreg(HW_REG_IB_STS2, 6, 4)
	s_add_co_i32 s3, s3, s4
	s_cmp_eq_u32 s2, 0
	s_mov_b32 s11, 0
	s_cselect_b32 s10, ttmp9, s3
	s_wait_kmcnt 0x0
	s_cmp_lt_i32 s10, s17
	s_cselect_b32 s7, -1, 0
	s_cmp_ge_i32 s10, s17
	s_cbranch_scc1 .LBB42_5
; %bb.4:
	s_load_b64 s[4:5], s[0:1], 0x20
	s_ashr_i32 s11, s10, 31
	s_delay_alu instid0(SALU_CYCLE_1)
	s_lshl_b64 s[12:13], s[10:11], 2
	s_wait_kmcnt 0x0
	s_add_nc_u64 s[4:5], s[4:5], s[12:13]
	s_load_b64 s[12:13], s[4:5], 0x0
	s_wait_kmcnt 0x0
	s_sub_co_i32 s20, s12, s6
	s_sub_co_i32 s11, s13, s6
.LBB42_5:
	s_bfe_u32 s3, ttmp6, 0x40010
	s_bfe_u32 s4, ttmp6, 0x40004
	s_add_co_i32 s3, s3, 1
	v_bfe_u32 v10, v0, 10, 10
	s_mul_i32 s3, ttmp7, s3
	v_and_b32_e32 v22, 0x3ff, v0
	s_add_co_i32 s4, s4, s3
	s_cmp_eq_u32 s2, 0
	v_mov_b64_e32 v[0:1], 0
	s_cselect_b32 s2, ttmp7, s4
	v_mov_b64_e32 v[16:17], 0
	v_lshl_add_u32 v14, s2, 4, v10
	v_cmp_gt_u32_e64 s3, 3, v22
	s_cmp_ge_i32 s20, s11
	v_ashrrev_i32_e32 v15, 31, v14
	v_cmp_gt_i32_e64 s2, s18, v14
	s_cbranch_scc1 .LBB42_17
; %bb.6:
	v_mul_u64_e32 v[12:13], s[8:9], v[14:15]
	s_clause 0x1
	s_load_b64 s[22:23], s[0:1], 0x40
	s_load_b128 s[12:15], s[0:1], 0x28
	v_cmp_eq_u32_e64 s4, 0, v10
	v_mul_u32_u24_e32 v10, 3, v10
	v_cmp_ne_u32_e32 vcc_lo, 0, v22
	s_xor_b32 s5, s2, -1
	v_mad_u32 v24, s20, 3, v22
	s_and_b32 s18, s3, s4
	v_add_lshl_u32 v25, v10, v22, 4
	s_or_b32 s17, vcc_lo, s5
	s_cmp_lg_u32 s16, 0x6f
	v_mov_b64_e32 v[0:1], 0
	v_mov_b64_e32 v[16:17], 0
	s_cselect_b32 s16, -1, 0
	s_ashr_i32 s21, s20, 31
	v_lshl_add_u32 v23, v22, 4, 0x300
	v_dual_lshlrev_b32 v26, 4, v10 :: v_dual_mov_b32 v10, 0
	v_add_nc_u32_e32 v27, 0x300, v25
	s_lshl_b64 s[4:5], s[20:21], 2
	s_wait_kmcnt 0x0
	v_lshl_add_u64 v[18:19], v[14:15], 4, s[22:23]
	s_add_nc_u64 s[4:5], s[12:13], s[4:5]
	v_lshl_add_u64 v[20:21], v[12:13], 4, s[22:23]
	s_branch .LBB42_8
.LBB42_7:                               ;   in Loop: Header=BB42_8 Depth=1
	s_or_b32 exec_lo, exec_lo, s12
	s_wait_loadcnt_dscnt 0x0
	s_barrier_signal -1
	s_barrier_wait -1
	ds_load_b128 v[28:31], v23
	ds_load_b128 v[32:35], v26
	s_add_co_i32 s20, s20, 1
	s_add_nc_u64 s[4:5], s[4:5], 4
	s_cmp_ge_i32 s20, s11
	s_wait_dscnt 0x0
	s_barrier_signal -1
	s_barrier_wait -1
	v_add_nc_u32_e32 v24, 3, v24
	v_fmac_f64_e32 v[16:17], v[28:29], v[32:33]
	v_fmac_f64_e32 v[0:1], v[30:31], v[32:33]
	s_delay_alu instid0(VALU_DEP_2) | instskip(NEXT) | instid1(VALU_DEP_2)
	v_fma_f64 v[16:17], -v[30:31], v[34:35], v[16:17]
	v_fmac_f64_e32 v[0:1], v[28:29], v[34:35]
	s_cbranch_scc1 .LBB42_17
.LBB42_8:                               ; =>This Inner Loop Header: Depth=1
	s_and_saveexec_b32 s12, s17
	s_delay_alu instid0(SALU_CYCLE_1)
	s_xor_b32 s12, exec_lo, s12
; %bb.9:                                ;   in Loop: Header=BB42_8 Depth=1
	v_dual_mov_b32 v11, v10 :: v_dual_mov_b32 v12, v10
	v_mov_b32_e32 v13, v10
	ds_store_b128 v25, v[10:13]
; %bb.10:                               ;   in Loop: Header=BB42_8 Depth=1
	s_and_not1_saveexec_b32 s19, s12
	s_cbranch_execz .LBB42_15
; %bb.11:                               ;   in Loop: Header=BB42_8 Depth=1
	s_load_b32 s12, s[4:5], 0x0
	s_mov_b32 s21, -1
	s_and_b32 vcc_lo, exec_lo, s16
	s_wait_kmcnt 0x0
	s_sub_co_i32 s12, s12, s6
	s_delay_alu instid0(SALU_CYCLE_1)
	s_ashr_i32 s13, s12, 31
	s_cbranch_vccz .LBB42_13
; %bb.12:                               ;   in Loop: Header=BB42_8 Depth=1
	s_mul_u64 s[22:23], s[8:9], s[12:13]
	s_mov_b32 s21, 0
	v_lshl_add_u64 v[12:13], s[22:23], 4, v[18:19]
	global_load_b128 v[28:31], v[12:13], off
	s_wait_loadcnt 0x0
	ds_store_2addr_b64 v25, v[28:29], v[30:31] offset1:1
.LBB42_13:                              ;   in Loop: Header=BB42_8 Depth=1
	s_and_not1_b32 vcc_lo, exec_lo, s21
	s_cbranch_vccnz .LBB42_15
; %bb.14:                               ;   in Loop: Header=BB42_8 Depth=1
	v_lshl_add_u64 v[12:13], s[12:13], 4, v[20:21]
	global_load_b128 v[28:31], v[12:13], off
	s_wait_loadcnt 0x0
	ds_store_2addr_b64 v25, v[28:29], v[30:31] offset1:1
.LBB42_15:                              ;   in Loop: Header=BB42_8 Depth=1
	s_or_b32 exec_lo, exec_lo, s19
	s_and_saveexec_b32 s12, s18
	s_cbranch_execz .LBB42_7
; %bb.16:                               ;   in Loop: Header=BB42_8 Depth=1
	global_load_b128 v[28:31], v24, s[14:15] scale_offset
	s_wait_loadcnt 0x0
	ds_store_2addr_b64 v27, v[28:29], v[30:31] offset1:1
	s_branch .LBB42_7
.LBB42_17:
	s_load_b64 s[4:5], s[0:1], 0x60
	s_and_b32 s2, s7, s2
	s_delay_alu instid0(SALU_CYCLE_1) | instskip(NEXT) | instid1(SALU_CYCLE_1)
	s_and_b32 s2, s2, s3
	s_and_b32 exec_lo, exec_lo, s2
	s_cbranch_execz .LBB42_22
; %bb.18:
	s_delay_alu instid0(VALU_DEP_1)
	v_mul_f64_e64 v[10:11], v[0:1], -v[8:9]
	v_mul_f64_e32 v[12:13], v[6:7], v[0:1]
	s_wait_xcnt 0x0
	s_load_b64 s[0:1], s[0:1], 0x68
	s_wait_loadcnt_dscnt 0x0
	v_cmp_neq_f64_e32 vcc_lo, 0, v[2:3]
	v_mad_u32 v0, s10, 3, v22
	s_delay_alu instid0(VALU_DEP_1)
	v_ashrrev_i32_e32 v1, 31, v0
	s_wait_kmcnt 0x0
	v_mul_u64_e32 v[14:15], s[0:1], v[14:15]
	v_cmp_neq_f64_e64 s0, 0, v[4:5]
	v_fmac_f64_e32 v[10:11], v[6:7], v[16:17]
	v_fmac_f64_e32 v[12:13], v[8:9], v[16:17]
	s_delay_alu instid0(VALU_DEP_4) | instskip(SKIP_1) | instid1(SALU_CYCLE_1)
	v_lshl_add_u64 v[6:7], v[14:15], 4, s[4:5]
	s_or_b32 s0, vcc_lo, s0
	s_and_saveexec_b32 s1, s0
	s_delay_alu instid0(SALU_CYCLE_1)
	s_xor_b32 s0, exec_lo, s1
	s_cbranch_execz .LBB42_20
; %bb.19:
	v_lshl_add_u64 v[0:1], v[0:1], 4, v[6:7]
	global_load_b128 v[6:9], v[0:1], off
	s_wait_loadcnt 0x0
	v_fmac_f64_e32 v[10:11], v[2:3], v[6:7]
	v_fmac_f64_e32 v[12:13], v[4:5], v[6:7]
                                        ; implicit-def: $vgpr6_vgpr7
	s_delay_alu instid0(VALU_DEP_2) | instskip(NEXT) | instid1(VALU_DEP_2)
	v_fma_f64 v[10:11], -v[4:5], v[8:9], v[10:11]
	v_fmac_f64_e32 v[12:13], v[2:3], v[8:9]
	global_store_b128 v[0:1], v[10:13], off
                                        ; implicit-def: $vgpr0
                                        ; implicit-def: $vgpr10_vgpr11
.LBB42_20:
	s_wait_xcnt 0x0
	s_and_not1_saveexec_b32 s0, s0
	s_cbranch_execz .LBB42_22
; %bb.21:
	v_lshl_add_u64 v[0:1], v[0:1], 4, v[6:7]
	global_store_b128 v[0:1], v[10:13], off
.LBB42_22:
	s_endpgm
	.section	.rodata,"a",@progbits
	.p2align	6, 0x0
	.amdhsa_kernel _ZN9rocsparseL29gebsrmm_small_blockdim_kernelILi3ELi1ELi3ELi16E21rocsparse_complex_numIdEEEv20rocsparse_direction_20rocsparse_operation_iiNS_24const_host_device_scalarIT3_EEPKiS9_PKS6_iiSB_lS7_PS6_l21rocsparse_index_base_b
		.amdhsa_group_segment_fixed_size 912
		.amdhsa_private_segment_fixed_size 0
		.amdhsa_kernarg_size 120
		.amdhsa_user_sgpr_count 2
		.amdhsa_user_sgpr_dispatch_ptr 0
		.amdhsa_user_sgpr_queue_ptr 0
		.amdhsa_user_sgpr_kernarg_segment_ptr 1
		.amdhsa_user_sgpr_dispatch_id 0
		.amdhsa_user_sgpr_kernarg_preload_length 0
		.amdhsa_user_sgpr_kernarg_preload_offset 0
		.amdhsa_user_sgpr_private_segment_size 0
		.amdhsa_wavefront_size32 1
		.amdhsa_uses_dynamic_stack 0
		.amdhsa_enable_private_segment 0
		.amdhsa_system_sgpr_workgroup_id_x 1
		.amdhsa_system_sgpr_workgroup_id_y 1
		.amdhsa_system_sgpr_workgroup_id_z 0
		.amdhsa_system_sgpr_workgroup_info 0
		.amdhsa_system_vgpr_workitem_id 1
		.amdhsa_next_free_vgpr 36
		.amdhsa_next_free_sgpr 24
		.amdhsa_named_barrier_count 0
		.amdhsa_reserve_vcc 1
		.amdhsa_float_round_mode_32 0
		.amdhsa_float_round_mode_16_64 0
		.amdhsa_float_denorm_mode_32 3
		.amdhsa_float_denorm_mode_16_64 3
		.amdhsa_fp16_overflow 0
		.amdhsa_memory_ordered 1
		.amdhsa_forward_progress 1
		.amdhsa_inst_pref_size 9
		.amdhsa_round_robin_scheduling 0
		.amdhsa_exception_fp_ieee_invalid_op 0
		.amdhsa_exception_fp_denorm_src 0
		.amdhsa_exception_fp_ieee_div_zero 0
		.amdhsa_exception_fp_ieee_overflow 0
		.amdhsa_exception_fp_ieee_underflow 0
		.amdhsa_exception_fp_ieee_inexact 0
		.amdhsa_exception_int_div_zero 0
	.end_amdhsa_kernel
	.section	.text._ZN9rocsparseL29gebsrmm_small_blockdim_kernelILi3ELi1ELi3ELi16E21rocsparse_complex_numIdEEEv20rocsparse_direction_20rocsparse_operation_iiNS_24const_host_device_scalarIT3_EEPKiS9_PKS6_iiSB_lS7_PS6_l21rocsparse_index_base_b,"axG",@progbits,_ZN9rocsparseL29gebsrmm_small_blockdim_kernelILi3ELi1ELi3ELi16E21rocsparse_complex_numIdEEEv20rocsparse_direction_20rocsparse_operation_iiNS_24const_host_device_scalarIT3_EEPKiS9_PKS6_iiSB_lS7_PS6_l21rocsparse_index_base_b,comdat
.Lfunc_end42:
	.size	_ZN9rocsparseL29gebsrmm_small_blockdim_kernelILi3ELi1ELi3ELi16E21rocsparse_complex_numIdEEEv20rocsparse_direction_20rocsparse_operation_iiNS_24const_host_device_scalarIT3_EEPKiS9_PKS6_iiSB_lS7_PS6_l21rocsparse_index_base_b, .Lfunc_end42-_ZN9rocsparseL29gebsrmm_small_blockdim_kernelILi3ELi1ELi3ELi16E21rocsparse_complex_numIdEEEv20rocsparse_direction_20rocsparse_operation_iiNS_24const_host_device_scalarIT3_EEPKiS9_PKS6_iiSB_lS7_PS6_l21rocsparse_index_base_b
                                        ; -- End function
	.set _ZN9rocsparseL29gebsrmm_small_blockdim_kernelILi3ELi1ELi3ELi16E21rocsparse_complex_numIdEEEv20rocsparse_direction_20rocsparse_operation_iiNS_24const_host_device_scalarIT3_EEPKiS9_PKS6_iiSB_lS7_PS6_l21rocsparse_index_base_b.num_vgpr, 36
	.set _ZN9rocsparseL29gebsrmm_small_blockdim_kernelILi3ELi1ELi3ELi16E21rocsparse_complex_numIdEEEv20rocsparse_direction_20rocsparse_operation_iiNS_24const_host_device_scalarIT3_EEPKiS9_PKS6_iiSB_lS7_PS6_l21rocsparse_index_base_b.num_agpr, 0
	.set _ZN9rocsparseL29gebsrmm_small_blockdim_kernelILi3ELi1ELi3ELi16E21rocsparse_complex_numIdEEEv20rocsparse_direction_20rocsparse_operation_iiNS_24const_host_device_scalarIT3_EEPKiS9_PKS6_iiSB_lS7_PS6_l21rocsparse_index_base_b.numbered_sgpr, 24
	.set _ZN9rocsparseL29gebsrmm_small_blockdim_kernelILi3ELi1ELi3ELi16E21rocsparse_complex_numIdEEEv20rocsparse_direction_20rocsparse_operation_iiNS_24const_host_device_scalarIT3_EEPKiS9_PKS6_iiSB_lS7_PS6_l21rocsparse_index_base_b.num_named_barrier, 0
	.set _ZN9rocsparseL29gebsrmm_small_blockdim_kernelILi3ELi1ELi3ELi16E21rocsparse_complex_numIdEEEv20rocsparse_direction_20rocsparse_operation_iiNS_24const_host_device_scalarIT3_EEPKiS9_PKS6_iiSB_lS7_PS6_l21rocsparse_index_base_b.private_seg_size, 0
	.set _ZN9rocsparseL29gebsrmm_small_blockdim_kernelILi3ELi1ELi3ELi16E21rocsparse_complex_numIdEEEv20rocsparse_direction_20rocsparse_operation_iiNS_24const_host_device_scalarIT3_EEPKiS9_PKS6_iiSB_lS7_PS6_l21rocsparse_index_base_b.uses_vcc, 1
	.set _ZN9rocsparseL29gebsrmm_small_blockdim_kernelILi3ELi1ELi3ELi16E21rocsparse_complex_numIdEEEv20rocsparse_direction_20rocsparse_operation_iiNS_24const_host_device_scalarIT3_EEPKiS9_PKS6_iiSB_lS7_PS6_l21rocsparse_index_base_b.uses_flat_scratch, 0
	.set _ZN9rocsparseL29gebsrmm_small_blockdim_kernelILi3ELi1ELi3ELi16E21rocsparse_complex_numIdEEEv20rocsparse_direction_20rocsparse_operation_iiNS_24const_host_device_scalarIT3_EEPKiS9_PKS6_iiSB_lS7_PS6_l21rocsparse_index_base_b.has_dyn_sized_stack, 0
	.set _ZN9rocsparseL29gebsrmm_small_blockdim_kernelILi3ELi1ELi3ELi16E21rocsparse_complex_numIdEEEv20rocsparse_direction_20rocsparse_operation_iiNS_24const_host_device_scalarIT3_EEPKiS9_PKS6_iiSB_lS7_PS6_l21rocsparse_index_base_b.has_recursion, 0
	.set _ZN9rocsparseL29gebsrmm_small_blockdim_kernelILi3ELi1ELi3ELi16E21rocsparse_complex_numIdEEEv20rocsparse_direction_20rocsparse_operation_iiNS_24const_host_device_scalarIT3_EEPKiS9_PKS6_iiSB_lS7_PS6_l21rocsparse_index_base_b.has_indirect_call, 0
	.section	.AMDGPU.csdata,"",@progbits
; Kernel info:
; codeLenInByte = 1064
; TotalNumSgprs: 26
; NumVgprs: 36
; ScratchSize: 0
; MemoryBound: 0
; FloatMode: 240
; IeeeMode: 1
; LDSByteSize: 912 bytes/workgroup (compile time only)
; SGPRBlocks: 0
; VGPRBlocks: 2
; NumSGPRsForWavesPerEU: 26
; NumVGPRsForWavesPerEU: 36
; NamedBarCnt: 0
; Occupancy: 16
; WaveLimiterHint : 0
; COMPUTE_PGM_RSRC2:SCRATCH_EN: 0
; COMPUTE_PGM_RSRC2:USER_SGPR: 2
; COMPUTE_PGM_RSRC2:TRAP_HANDLER: 0
; COMPUTE_PGM_RSRC2:TGID_X_EN: 1
; COMPUTE_PGM_RSRC2:TGID_Y_EN: 1
; COMPUTE_PGM_RSRC2:TGID_Z_EN: 0
; COMPUTE_PGM_RSRC2:TIDIG_COMP_CNT: 1
	.section	.text._ZN9rocsparseL29gebsrmm_small_blockdim_kernelILi3ELi2ELi3ELi16E21rocsparse_complex_numIdEEEv20rocsparse_direction_20rocsparse_operation_iiNS_24const_host_device_scalarIT3_EEPKiS9_PKS6_iiSB_lS7_PS6_l21rocsparse_index_base_b,"axG",@progbits,_ZN9rocsparseL29gebsrmm_small_blockdim_kernelILi3ELi2ELi3ELi16E21rocsparse_complex_numIdEEEv20rocsparse_direction_20rocsparse_operation_iiNS_24const_host_device_scalarIT3_EEPKiS9_PKS6_iiSB_lS7_PS6_l21rocsparse_index_base_b,comdat
	.globl	_ZN9rocsparseL29gebsrmm_small_blockdim_kernelILi3ELi2ELi3ELi16E21rocsparse_complex_numIdEEEv20rocsparse_direction_20rocsparse_operation_iiNS_24const_host_device_scalarIT3_EEPKiS9_PKS6_iiSB_lS7_PS6_l21rocsparse_index_base_b ; -- Begin function _ZN9rocsparseL29gebsrmm_small_blockdim_kernelILi3ELi2ELi3ELi16E21rocsparse_complex_numIdEEEv20rocsparse_direction_20rocsparse_operation_iiNS_24const_host_device_scalarIT3_EEPKiS9_PKS6_iiSB_lS7_PS6_l21rocsparse_index_base_b
	.p2align	8
	.type	_ZN9rocsparseL29gebsrmm_small_blockdim_kernelILi3ELi2ELi3ELi16E21rocsparse_complex_numIdEEEv20rocsparse_direction_20rocsparse_operation_iiNS_24const_host_device_scalarIT3_EEPKiS9_PKS6_iiSB_lS7_PS6_l21rocsparse_index_base_b,@function
_ZN9rocsparseL29gebsrmm_small_blockdim_kernelILi3ELi2ELi3ELi16E21rocsparse_complex_numIdEEEv20rocsparse_direction_20rocsparse_operation_iiNS_24const_host_device_scalarIT3_EEPKiS9_PKS6_iiSB_lS7_PS6_l21rocsparse_index_base_b: ; @_ZN9rocsparseL29gebsrmm_small_blockdim_kernelILi3ELi2ELi3ELi16E21rocsparse_complex_numIdEEEv20rocsparse_direction_20rocsparse_operation_iiNS_24const_host_device_scalarIT3_EEPKiS9_PKS6_iiSB_lS7_PS6_l21rocsparse_index_base_b
; %bb.0:
	s_clause 0x1
	s_load_b64 s[6:7], s[0:1], 0x70
	s_load_b64 s[2:3], s[0:1], 0x10
	v_mov_b32_e32 v1, 0
	s_add_nc_u64 s[4:5], s[0:1], 16
	s_load_b128 s[8:11], s[0:1], 0x48
	s_wait_kmcnt 0x0
	s_bitcmp1_b32 s7, 0
	s_cselect_b32 s3, s5, s3
	s_cselect_b32 s2, s4, s2
	flat_load_b128 v[6:9], v1, s[2:3]
	s_wait_xcnt 0x0
	s_add_nc_u64 s[2:3], s[0:1], 0x50
	s_delay_alu instid0(SALU_CYCLE_1)
	s_cselect_b32 s3, s3, s11
	s_cselect_b32 s2, s2, s10
	flat_load_b128 v[2:5], v1, s[2:3]
	s_wait_loadcnt_dscnt 0x101
	v_cmp_eq_f64_e32 vcc_lo, 0, v[6:7]
	s_wait_xcnt 0x0
	v_cmp_eq_f64_e64 s2, 0, v[8:9]
	s_and_b32 s4, vcc_lo, s2
	s_mov_b32 s2, -1
	s_and_saveexec_b32 s3, s4
	s_cbranch_execz .LBB43_2
; %bb.1:
	s_wait_loadcnt_dscnt 0x0
	v_cmp_neq_f64_e32 vcc_lo, 1.0, v[2:3]
	v_cmp_neq_f64_e64 s2, 0, v[4:5]
	s_or_b32 s2, vcc_lo, s2
	s_delay_alu instid0(SALU_CYCLE_1)
	s_or_not1_b32 s2, s2, exec_lo
.LBB43_2:
	s_or_b32 exec_lo, exec_lo, s3
	s_and_saveexec_b32 s3, s2
	s_cbranch_execz .LBB43_22
; %bb.3:
	s_load_b128 s[16:19], s[0:1], 0x0
	s_bfe_u32 s2, ttmp6, 0x4000c
	s_and_b32 s3, ttmp6, 15
	s_add_co_i32 s2, s2, 1
	s_mov_b32 s20, 0
	s_mul_i32 s4, ttmp9, s2
	s_getreg_b32 s2, hwreg(HW_REG_IB_STS2, 6, 4)
	s_add_co_i32 s3, s3, s4
	s_cmp_eq_u32 s2, 0
	s_mov_b32 s11, 0
	s_cselect_b32 s10, ttmp9, s3
	s_wait_kmcnt 0x0
	s_cmp_lt_i32 s10, s18
	s_cselect_b32 s7, -1, 0
	s_cmp_ge_i32 s10, s18
	s_cbranch_scc1 .LBB43_5
; %bb.4:
	s_load_b64 s[4:5], s[0:1], 0x20
	s_ashr_i32 s11, s10, 31
	s_delay_alu instid0(SALU_CYCLE_1)
	s_lshl_b64 s[12:13], s[10:11], 2
	s_wait_kmcnt 0x0
	s_add_nc_u64 s[4:5], s[4:5], s[12:13]
	s_load_b64 s[12:13], s[4:5], 0x0
	s_wait_kmcnt 0x0
	s_sub_co_i32 s20, s12, s6
	s_sub_co_i32 s11, s13, s6
.LBB43_5:
	s_bfe_u32 s3, ttmp6, 0x40010
	s_bfe_u32 s4, ttmp6, 0x40004
	s_add_co_i32 s3, s3, 1
	v_bfe_u32 v11, v0, 10, 10
	s_mul_i32 s3, ttmp7, s3
	v_and_b32_e32 v22, 0x3ff, v0
	s_add_co_i32 s4, s4, s3
	s_cmp_eq_u32 s2, 0
	v_mov_b64_e32 v[0:1], 0
	s_cselect_b32 s2, ttmp7, s4
	v_mov_b64_e32 v[16:17], 0
	v_lshl_add_u32 v14, s2, 4, v11
	v_cmp_gt_u32_e64 s3, 3, v22
	s_cmp_ge_i32 s20, s11
	v_ashrrev_i32_e32 v15, 31, v14
	v_cmp_gt_i32_e64 s2, s19, v14
	s_cbranch_scc1 .LBB43_17
; %bb.6:
	v_mul_u64_e32 v[12:13], s[8:9], v[14:15]
	s_clause 0x1
	s_load_b64 s[22:23], s[0:1], 0x40
	s_load_b128 s[12:15], s[0:1], 0x28
	v_cmp_lt_u32_e32 vcc_lo, 1, v22
	v_cmp_gt_u32_e64 s4, 2, v11
	s_xor_b32 s5, s2, -1
	v_mul_u32_u24_e32 v27, 3, v11
	v_mad_u32_u24 v17, v11, 3, v22
	s_or_b32 s18, s5, vcc_lo
	s_and_b32 s19, s3, s4
	s_cmp_lg_u32 s17, 0x6f
	v_lshl_add_u32 v11, v22, 1, v11
	s_cselect_b32 s17, -1, 0
	s_cmp_eq_u32 s16, 0
	v_dual_lshlrev_b32 v16, 4, v22 :: v_dual_mov_b32 v10, 0
	s_cselect_b32 vcc_lo, -1, 0
	s_delay_alu instid0(SALU_CYCLE_1) | instskip(SKIP_1) | instid1(VALU_DEP_3)
	v_dual_lshlrev_b32 v23, 4, v17 :: v_dual_cndmask_b32 v11, v17, v11, vcc_lo
	v_mov_b64_e32 v[0:1], 0
	v_dual_mov_b32 v17, v10 :: v_dual_add_nc_u32 v24, 0x300, v16
	s_ashr_i32 s21, s20, 31
	s_delay_alu instid0(VALU_DEP_3)
	v_mad_u32 v25, s20, 6, v11
	v_add_nc_u32_e32 v26, 0x300, v23
	s_wait_kmcnt 0x0
	v_lshl_add_u64 v[18:19], v[14:15], 4, s[22:23]
	v_lshlrev_b32_e32 v27, 4, v27
	s_lshl_b64 s[4:5], s[20:21], 2
	s_delay_alu instid0(SALU_CYCLE_1) | instskip(SKIP_1) | instid1(VALU_DEP_1)
	s_add_nc_u64 s[4:5], s[12:13], s[4:5]
	v_lshl_add_u64 v[12:13], v[12:13], 4, s[22:23]
	v_add_nc_u64_e32 v[20:21], v[12:13], v[16:17]
	v_mov_b64_e32 v[16:17], 0
	s_branch .LBB43_8
.LBB43_7:                               ;   in Loop: Header=BB43_8 Depth=1
	s_or_b32 exec_lo, exec_lo, s12
	s_wait_loadcnt_dscnt 0x0
	s_barrier_signal -1
	s_barrier_wait -1
	ds_load_b128 v[28:31], v27
	ds_load_b128 v[32:35], v24
	ds_load_b128 v[36:39], v24 offset:48
	ds_load_b128 v[40:43], v27 offset:16
	s_add_co_i32 s20, s20, 1
	s_add_nc_u64 s[4:5], s[4:5], 4
	s_cmp_ge_i32 s20, s11
	s_wait_dscnt 0x0
	s_barrier_signal -1
	s_barrier_wait -1
	v_add_nc_u32_e32 v25, 6, v25
	v_fmac_f64_e32 v[16:17], v[32:33], v[28:29]
	v_fmac_f64_e32 v[0:1], v[34:35], v[28:29]
	s_delay_alu instid0(VALU_DEP_2) | instskip(NEXT) | instid1(VALU_DEP_2)
	v_fma_f64 v[12:13], -v[34:35], v[30:31], v[16:17]
	v_fmac_f64_e32 v[0:1], v[32:33], v[30:31]
	s_delay_alu instid0(VALU_DEP_2) | instskip(NEXT) | instid1(VALU_DEP_2)
	v_fmac_f64_e32 v[12:13], v[36:37], v[40:41]
	v_fmac_f64_e32 v[0:1], v[38:39], v[40:41]
	s_delay_alu instid0(VALU_DEP_2) | instskip(NEXT) | instid1(VALU_DEP_2)
	v_fma_f64 v[16:17], -v[38:39], v[42:43], v[12:13]
	v_fmac_f64_e32 v[0:1], v[36:37], v[42:43]
	s_cbranch_scc1 .LBB43_17
.LBB43_8:                               ; =>This Inner Loop Header: Depth=1
	s_and_saveexec_b32 s12, s18
	s_delay_alu instid0(SALU_CYCLE_1)
	s_xor_b32 s12, exec_lo, s12
; %bb.9:                                ;   in Loop: Header=BB43_8 Depth=1
	v_dual_mov_b32 v11, v10 :: v_dual_mov_b32 v12, v10
	v_mov_b32_e32 v13, v10
	ds_store_b128 v23, v[10:13]
; %bb.10:                               ;   in Loop: Header=BB43_8 Depth=1
	s_and_not1_saveexec_b32 s16, s12
	s_cbranch_execz .LBB43_15
; %bb.11:                               ;   in Loop: Header=BB43_8 Depth=1
	s_load_b32 s12, s[4:5], 0x0
	s_mov_b32 s13, -1
	s_and_b32 vcc_lo, exec_lo, s17
	s_wait_kmcnt 0x0
	s_sub_co_i32 s12, s12, s6
	s_delay_alu instid0(SALU_CYCLE_1)
	s_lshl_b32 s12, s12, 1
	s_cbranch_vccz .LBB43_13
; %bb.12:                               ;   in Loop: Header=BB43_8 Depth=1
	v_or_b32_e32 v12, s12, v22
	s_mov_b32 s13, 0
	s_delay_alu instid0(VALU_DEP_1) | instskip(NEXT) | instid1(VALU_DEP_1)
	v_ashrrev_i32_e32 v13, 31, v12
	v_mul_u64_e32 v[12:13], s[8:9], v[12:13]
	s_delay_alu instid0(VALU_DEP_1)
	v_lshl_add_u64 v[12:13], v[12:13], 4, v[18:19]
	global_load_b128 v[28:31], v[12:13], off
	s_wait_loadcnt 0x0
	ds_store_2addr_b64 v23, v[28:29], v[30:31] offset1:1
.LBB43_13:                              ;   in Loop: Header=BB43_8 Depth=1
	s_and_not1_b32 vcc_lo, exec_lo, s13
	s_cbranch_vccnz .LBB43_15
; %bb.14:                               ;   in Loop: Header=BB43_8 Depth=1
	s_ashr_i32 s13, s12, 31
	s_delay_alu instid0(SALU_CYCLE_1)
	v_lshl_add_u64 v[12:13], s[12:13], 4, v[20:21]
	global_load_b128 v[28:31], v[12:13], off
	s_wait_loadcnt 0x0
	ds_store_2addr_b64 v23, v[28:29], v[30:31] offset1:1
.LBB43_15:                              ;   in Loop: Header=BB43_8 Depth=1
	s_or_b32 exec_lo, exec_lo, s16
	s_and_saveexec_b32 s12, s19
	s_cbranch_execz .LBB43_7
; %bb.16:                               ;   in Loop: Header=BB43_8 Depth=1
	global_load_b128 v[28:31], v25, s[14:15] scale_offset
	s_wait_loadcnt 0x0
	ds_store_2addr_b64 v26, v[28:29], v[30:31] offset1:1
	s_branch .LBB43_7
.LBB43_17:
	s_load_b64 s[4:5], s[0:1], 0x60
	s_and_b32 s2, s7, s2
	s_delay_alu instid0(SALU_CYCLE_1) | instskip(NEXT) | instid1(SALU_CYCLE_1)
	s_and_b32 s2, s2, s3
	s_and_b32 exec_lo, exec_lo, s2
	s_cbranch_execz .LBB43_22
; %bb.18:
	s_delay_alu instid0(VALU_DEP_1)
	v_mul_f64_e64 v[10:11], v[0:1], -v[8:9]
	v_mul_f64_e32 v[12:13], v[6:7], v[0:1]
	s_wait_xcnt 0x0
	s_load_b64 s[0:1], s[0:1], 0x68
	s_wait_loadcnt_dscnt 0x0
	v_cmp_neq_f64_e32 vcc_lo, 0, v[2:3]
	v_mad_u32 v0, s10, 3, v22
	s_delay_alu instid0(VALU_DEP_1)
	v_ashrrev_i32_e32 v1, 31, v0
	s_wait_kmcnt 0x0
	v_mul_u64_e32 v[14:15], s[0:1], v[14:15]
	v_cmp_neq_f64_e64 s0, 0, v[4:5]
	v_fmac_f64_e32 v[10:11], v[6:7], v[16:17]
	v_fmac_f64_e32 v[12:13], v[8:9], v[16:17]
	s_delay_alu instid0(VALU_DEP_4) | instskip(SKIP_1) | instid1(SALU_CYCLE_1)
	v_lshl_add_u64 v[6:7], v[14:15], 4, s[4:5]
	s_or_b32 s0, vcc_lo, s0
	s_and_saveexec_b32 s1, s0
	s_delay_alu instid0(SALU_CYCLE_1)
	s_xor_b32 s0, exec_lo, s1
	s_cbranch_execz .LBB43_20
; %bb.19:
	v_lshl_add_u64 v[0:1], v[0:1], 4, v[6:7]
	global_load_b128 v[6:9], v[0:1], off
	s_wait_loadcnt 0x0
	v_fmac_f64_e32 v[10:11], v[2:3], v[6:7]
	v_fmac_f64_e32 v[12:13], v[4:5], v[6:7]
                                        ; implicit-def: $vgpr6_vgpr7
	s_delay_alu instid0(VALU_DEP_2) | instskip(NEXT) | instid1(VALU_DEP_2)
	v_fma_f64 v[10:11], -v[4:5], v[8:9], v[10:11]
	v_fmac_f64_e32 v[12:13], v[2:3], v[8:9]
	global_store_b128 v[0:1], v[10:13], off
                                        ; implicit-def: $vgpr0
                                        ; implicit-def: $vgpr10_vgpr11
.LBB43_20:
	s_wait_xcnt 0x0
	s_and_not1_saveexec_b32 s0, s0
	s_cbranch_execz .LBB43_22
; %bb.21:
	v_lshl_add_u64 v[0:1], v[0:1], 4, v[6:7]
	global_store_b128 v[0:1], v[10:13], off
.LBB43_22:
	s_endpgm
	.section	.rodata,"a",@progbits
	.p2align	6, 0x0
	.amdhsa_kernel _ZN9rocsparseL29gebsrmm_small_blockdim_kernelILi3ELi2ELi3ELi16E21rocsparse_complex_numIdEEEv20rocsparse_direction_20rocsparse_operation_iiNS_24const_host_device_scalarIT3_EEPKiS9_PKS6_iiSB_lS7_PS6_l21rocsparse_index_base_b
		.amdhsa_group_segment_fixed_size 912
		.amdhsa_private_segment_fixed_size 0
		.amdhsa_kernarg_size 120
		.amdhsa_user_sgpr_count 2
		.amdhsa_user_sgpr_dispatch_ptr 0
		.amdhsa_user_sgpr_queue_ptr 0
		.amdhsa_user_sgpr_kernarg_segment_ptr 1
		.amdhsa_user_sgpr_dispatch_id 0
		.amdhsa_user_sgpr_kernarg_preload_length 0
		.amdhsa_user_sgpr_kernarg_preload_offset 0
		.amdhsa_user_sgpr_private_segment_size 0
		.amdhsa_wavefront_size32 1
		.amdhsa_uses_dynamic_stack 0
		.amdhsa_enable_private_segment 0
		.amdhsa_system_sgpr_workgroup_id_x 1
		.amdhsa_system_sgpr_workgroup_id_y 1
		.amdhsa_system_sgpr_workgroup_id_z 0
		.amdhsa_system_sgpr_workgroup_info 0
		.amdhsa_system_vgpr_workitem_id 1
		.amdhsa_next_free_vgpr 44
		.amdhsa_next_free_sgpr 24
		.amdhsa_named_barrier_count 0
		.amdhsa_reserve_vcc 1
		.amdhsa_float_round_mode_32 0
		.amdhsa_float_round_mode_16_64 0
		.amdhsa_float_denorm_mode_32 3
		.amdhsa_float_denorm_mode_16_64 3
		.amdhsa_fp16_overflow 0
		.amdhsa_memory_ordered 1
		.amdhsa_forward_progress 1
		.amdhsa_inst_pref_size 10
		.amdhsa_round_robin_scheduling 0
		.amdhsa_exception_fp_ieee_invalid_op 0
		.amdhsa_exception_fp_denorm_src 0
		.amdhsa_exception_fp_ieee_div_zero 0
		.amdhsa_exception_fp_ieee_overflow 0
		.amdhsa_exception_fp_ieee_underflow 0
		.amdhsa_exception_fp_ieee_inexact 0
		.amdhsa_exception_int_div_zero 0
	.end_amdhsa_kernel
	.section	.text._ZN9rocsparseL29gebsrmm_small_blockdim_kernelILi3ELi2ELi3ELi16E21rocsparse_complex_numIdEEEv20rocsparse_direction_20rocsparse_operation_iiNS_24const_host_device_scalarIT3_EEPKiS9_PKS6_iiSB_lS7_PS6_l21rocsparse_index_base_b,"axG",@progbits,_ZN9rocsparseL29gebsrmm_small_blockdim_kernelILi3ELi2ELi3ELi16E21rocsparse_complex_numIdEEEv20rocsparse_direction_20rocsparse_operation_iiNS_24const_host_device_scalarIT3_EEPKiS9_PKS6_iiSB_lS7_PS6_l21rocsparse_index_base_b,comdat
.Lfunc_end43:
	.size	_ZN9rocsparseL29gebsrmm_small_blockdim_kernelILi3ELi2ELi3ELi16E21rocsparse_complex_numIdEEEv20rocsparse_direction_20rocsparse_operation_iiNS_24const_host_device_scalarIT3_EEPKiS9_PKS6_iiSB_lS7_PS6_l21rocsparse_index_base_b, .Lfunc_end43-_ZN9rocsparseL29gebsrmm_small_blockdim_kernelILi3ELi2ELi3ELi16E21rocsparse_complex_numIdEEEv20rocsparse_direction_20rocsparse_operation_iiNS_24const_host_device_scalarIT3_EEPKiS9_PKS6_iiSB_lS7_PS6_l21rocsparse_index_base_b
                                        ; -- End function
	.set _ZN9rocsparseL29gebsrmm_small_blockdim_kernelILi3ELi2ELi3ELi16E21rocsparse_complex_numIdEEEv20rocsparse_direction_20rocsparse_operation_iiNS_24const_host_device_scalarIT3_EEPKiS9_PKS6_iiSB_lS7_PS6_l21rocsparse_index_base_b.num_vgpr, 44
	.set _ZN9rocsparseL29gebsrmm_small_blockdim_kernelILi3ELi2ELi3ELi16E21rocsparse_complex_numIdEEEv20rocsparse_direction_20rocsparse_operation_iiNS_24const_host_device_scalarIT3_EEPKiS9_PKS6_iiSB_lS7_PS6_l21rocsparse_index_base_b.num_agpr, 0
	.set _ZN9rocsparseL29gebsrmm_small_blockdim_kernelILi3ELi2ELi3ELi16E21rocsparse_complex_numIdEEEv20rocsparse_direction_20rocsparse_operation_iiNS_24const_host_device_scalarIT3_EEPKiS9_PKS6_iiSB_lS7_PS6_l21rocsparse_index_base_b.numbered_sgpr, 24
	.set _ZN9rocsparseL29gebsrmm_small_blockdim_kernelILi3ELi2ELi3ELi16E21rocsparse_complex_numIdEEEv20rocsparse_direction_20rocsparse_operation_iiNS_24const_host_device_scalarIT3_EEPKiS9_PKS6_iiSB_lS7_PS6_l21rocsparse_index_base_b.num_named_barrier, 0
	.set _ZN9rocsparseL29gebsrmm_small_blockdim_kernelILi3ELi2ELi3ELi16E21rocsparse_complex_numIdEEEv20rocsparse_direction_20rocsparse_operation_iiNS_24const_host_device_scalarIT3_EEPKiS9_PKS6_iiSB_lS7_PS6_l21rocsparse_index_base_b.private_seg_size, 0
	.set _ZN9rocsparseL29gebsrmm_small_blockdim_kernelILi3ELi2ELi3ELi16E21rocsparse_complex_numIdEEEv20rocsparse_direction_20rocsparse_operation_iiNS_24const_host_device_scalarIT3_EEPKiS9_PKS6_iiSB_lS7_PS6_l21rocsparse_index_base_b.uses_vcc, 1
	.set _ZN9rocsparseL29gebsrmm_small_blockdim_kernelILi3ELi2ELi3ELi16E21rocsparse_complex_numIdEEEv20rocsparse_direction_20rocsparse_operation_iiNS_24const_host_device_scalarIT3_EEPKiS9_PKS6_iiSB_lS7_PS6_l21rocsparse_index_base_b.uses_flat_scratch, 0
	.set _ZN9rocsparseL29gebsrmm_small_blockdim_kernelILi3ELi2ELi3ELi16E21rocsparse_complex_numIdEEEv20rocsparse_direction_20rocsparse_operation_iiNS_24const_host_device_scalarIT3_EEPKiS9_PKS6_iiSB_lS7_PS6_l21rocsparse_index_base_b.has_dyn_sized_stack, 0
	.set _ZN9rocsparseL29gebsrmm_small_blockdim_kernelILi3ELi2ELi3ELi16E21rocsparse_complex_numIdEEEv20rocsparse_direction_20rocsparse_operation_iiNS_24const_host_device_scalarIT3_EEPKiS9_PKS6_iiSB_lS7_PS6_l21rocsparse_index_base_b.has_recursion, 0
	.set _ZN9rocsparseL29gebsrmm_small_blockdim_kernelILi3ELi2ELi3ELi16E21rocsparse_complex_numIdEEEv20rocsparse_direction_20rocsparse_operation_iiNS_24const_host_device_scalarIT3_EEPKiS9_PKS6_iiSB_lS7_PS6_l21rocsparse_index_base_b.has_indirect_call, 0
	.section	.AMDGPU.csdata,"",@progbits
; Kernel info:
; codeLenInByte = 1180
; TotalNumSgprs: 26
; NumVgprs: 44
; ScratchSize: 0
; MemoryBound: 0
; FloatMode: 240
; IeeeMode: 1
; LDSByteSize: 912 bytes/workgroup (compile time only)
; SGPRBlocks: 0
; VGPRBlocks: 2
; NumSGPRsForWavesPerEU: 26
; NumVGPRsForWavesPerEU: 44
; NamedBarCnt: 0
; Occupancy: 16
; WaveLimiterHint : 0
; COMPUTE_PGM_RSRC2:SCRATCH_EN: 0
; COMPUTE_PGM_RSRC2:USER_SGPR: 2
; COMPUTE_PGM_RSRC2:TRAP_HANDLER: 0
; COMPUTE_PGM_RSRC2:TGID_X_EN: 1
; COMPUTE_PGM_RSRC2:TGID_Y_EN: 1
; COMPUTE_PGM_RSRC2:TGID_Z_EN: 0
; COMPUTE_PGM_RSRC2:TIDIG_COMP_CNT: 1
	.section	.text._ZN9rocsparseL29gebsrmm_small_blockdim_kernelILi3ELi4ELi4ELi16E21rocsparse_complex_numIdEEEv20rocsparse_direction_20rocsparse_operation_iiNS_24const_host_device_scalarIT3_EEPKiS9_PKS6_iiSB_lS7_PS6_l21rocsparse_index_base_b,"axG",@progbits,_ZN9rocsparseL29gebsrmm_small_blockdim_kernelILi3ELi4ELi4ELi16E21rocsparse_complex_numIdEEEv20rocsparse_direction_20rocsparse_operation_iiNS_24const_host_device_scalarIT3_EEPKiS9_PKS6_iiSB_lS7_PS6_l21rocsparse_index_base_b,comdat
	.globl	_ZN9rocsparseL29gebsrmm_small_blockdim_kernelILi3ELi4ELi4ELi16E21rocsparse_complex_numIdEEEv20rocsparse_direction_20rocsparse_operation_iiNS_24const_host_device_scalarIT3_EEPKiS9_PKS6_iiSB_lS7_PS6_l21rocsparse_index_base_b ; -- Begin function _ZN9rocsparseL29gebsrmm_small_blockdim_kernelILi3ELi4ELi4ELi16E21rocsparse_complex_numIdEEEv20rocsparse_direction_20rocsparse_operation_iiNS_24const_host_device_scalarIT3_EEPKiS9_PKS6_iiSB_lS7_PS6_l21rocsparse_index_base_b
	.p2align	8
	.type	_ZN9rocsparseL29gebsrmm_small_blockdim_kernelILi3ELi4ELi4ELi16E21rocsparse_complex_numIdEEEv20rocsparse_direction_20rocsparse_operation_iiNS_24const_host_device_scalarIT3_EEPKiS9_PKS6_iiSB_lS7_PS6_l21rocsparse_index_base_b,@function
_ZN9rocsparseL29gebsrmm_small_blockdim_kernelILi3ELi4ELi4ELi16E21rocsparse_complex_numIdEEEv20rocsparse_direction_20rocsparse_operation_iiNS_24const_host_device_scalarIT3_EEPKiS9_PKS6_iiSB_lS7_PS6_l21rocsparse_index_base_b: ; @_ZN9rocsparseL29gebsrmm_small_blockdim_kernelILi3ELi4ELi4ELi16E21rocsparse_complex_numIdEEEv20rocsparse_direction_20rocsparse_operation_iiNS_24const_host_device_scalarIT3_EEPKiS9_PKS6_iiSB_lS7_PS6_l21rocsparse_index_base_b
; %bb.0:
	s_clause 0x1
	s_load_b64 s[6:7], s[0:1], 0x70
	s_load_b64 s[2:3], s[0:1], 0x10
	v_mov_b32_e32 v1, 0
	s_add_nc_u64 s[4:5], s[0:1], 16
	s_load_b128 s[8:11], s[0:1], 0x48
	s_wait_kmcnt 0x0
	s_bitcmp1_b32 s7, 0
	s_cselect_b32 s3, s5, s3
	s_cselect_b32 s2, s4, s2
	flat_load_b128 v[6:9], v1, s[2:3]
	s_wait_xcnt 0x0
	s_add_nc_u64 s[2:3], s[0:1], 0x50
	s_delay_alu instid0(SALU_CYCLE_1)
	s_cselect_b32 s3, s3, s11
	s_cselect_b32 s2, s2, s10
	flat_load_b128 v[2:5], v1, s[2:3]
	s_wait_loadcnt_dscnt 0x101
	v_cmp_eq_f64_e32 vcc_lo, 0, v[6:7]
	s_wait_xcnt 0x0
	v_cmp_eq_f64_e64 s2, 0, v[8:9]
	s_and_b32 s4, vcc_lo, s2
	s_mov_b32 s2, -1
	s_and_saveexec_b32 s3, s4
	s_cbranch_execz .LBB44_2
; %bb.1:
	s_wait_loadcnt_dscnt 0x0
	v_cmp_neq_f64_e32 vcc_lo, 1.0, v[2:3]
	v_cmp_neq_f64_e64 s2, 0, v[4:5]
	s_or_b32 s2, vcc_lo, s2
	s_delay_alu instid0(SALU_CYCLE_1)
	s_or_not1_b32 s2, s2, exec_lo
.LBB44_2:
	s_or_b32 exec_lo, exec_lo, s3
	s_and_saveexec_b32 s3, s2
	s_cbranch_execz .LBB44_22
; %bb.3:
	s_load_b128 s[16:19], s[0:1], 0x0
	s_bfe_u32 s2, ttmp6, 0x4000c
	s_and_b32 s3, ttmp6, 15
	s_add_co_i32 s2, s2, 1
	s_mov_b32 s20, 0
	s_mul_i32 s4, ttmp9, s2
	s_getreg_b32 s2, hwreg(HW_REG_IB_STS2, 6, 4)
	s_add_co_i32 s3, s3, s4
	s_cmp_eq_u32 s2, 0
	s_mov_b32 s11, 0
	s_cselect_b32 s10, ttmp9, s3
	s_wait_kmcnt 0x0
	s_cmp_lt_i32 s10, s18
	s_cselect_b32 s7, -1, 0
	s_cmp_ge_i32 s10, s18
	s_cbranch_scc1 .LBB44_5
; %bb.4:
	s_load_b64 s[4:5], s[0:1], 0x20
	s_ashr_i32 s11, s10, 31
	s_delay_alu instid0(SALU_CYCLE_1)
	s_lshl_b64 s[12:13], s[10:11], 2
	s_wait_kmcnt 0x0
	s_add_nc_u64 s[4:5], s[4:5], s[12:13]
	s_load_b64 s[12:13], s[4:5], 0x0
	s_wait_kmcnt 0x0
	s_sub_co_i32 s20, s12, s6
	s_sub_co_i32 s11, s13, s6
.LBB44_5:
	s_bfe_u32 s3, ttmp6, 0x40010
	s_bfe_u32 s4, ttmp6, 0x40004
	s_add_co_i32 s3, s3, 1
	v_bfe_u32 v11, v0, 10, 10
	s_mul_i32 s3, ttmp7, s3
	v_and_b32_e32 v22, 0x3ff, v0
	s_add_co_i32 s4, s4, s3
	s_cmp_eq_u32 s2, 0
	v_mov_b64_e32 v[0:1], 0
	s_cselect_b32 s2, ttmp7, s4
	v_mov_b64_e32 v[20:21], 0
	v_lshl_add_u32 v14, s2, 4, v11
	v_cmp_gt_u32_e64 s3, 3, v22
	s_cmp_ge_i32 s20, s11
	v_ashrrev_i32_e32 v15, 31, v14
	v_cmp_gt_i32_e64 s2, s19, v14
	s_cbranch_scc1 .LBB44_17
; %bb.6:
	v_mul_u64_e32 v[12:13], s[8:9], v[14:15]
	s_clause 0x1
	s_load_b64 s[22:23], s[0:1], 0x40
	s_load_b128 s[12:15], s[0:1], 0x28
	v_cmp_lt_u32_e32 vcc_lo, 3, v22
	v_cmp_gt_u32_e64 s4, 4, v11
	v_lshl_add_u32 v16, v11, 2, v22
	s_xor_b32 s5, s2, -1
	v_lshl_add_u32 v17, v22, 2, v11
	s_or_b32 s18, s5, vcc_lo
	s_and_b32 s19, s3, s4
	s_cmp_lg_u32 s17, 0x6f
	v_dual_sub_nc_u32 v19, v16, v11 :: v_dual_lshlrev_b32 v23, 4, v16
	s_cselect_b32 s17, -1, 0
	s_cmp_eq_u32 s16, 0
	v_dual_lshlrev_b32 v18, 4, v22 :: v_dual_mov_b32 v10, 0
	s_cselect_b32 vcc_lo, -1, 0
	v_mov_b64_e32 v[0:1], 0
	s_delay_alu instid0(VALU_DEP_2) | instskip(NEXT) | instid1(VALU_DEP_3)
	v_dual_cndmask_b32 v17, v19, v17 :: v_dual_add_nc_u32 v24, 0x400, v18
	v_mov_b32_e32 v19, v10
	v_mov_b64_e32 v[20:21], 0
	s_ashr_i32 s21, s20, 31
	s_delay_alu instid0(VALU_DEP_3)
	v_mad_u32 v25, s20, 12, v17
	v_add_nc_u32_e32 v26, 0x400, v23
	s_wait_kmcnt 0x0
	v_lshl_add_u64 v[16:17], v[14:15], 4, s[22:23]
	v_lshlrev_b32_e32 v27, 6, v11
	s_lshl_b64 s[4:5], s[20:21], 2
	s_delay_alu instid0(SALU_CYCLE_1) | instskip(SKIP_1) | instid1(VALU_DEP_1)
	s_add_nc_u64 s[4:5], s[12:13], s[4:5]
	v_lshl_add_u64 v[12:13], v[12:13], 4, s[22:23]
	v_add_nc_u64_e32 v[18:19], v[12:13], v[18:19]
	s_branch .LBB44_8
.LBB44_7:                               ;   in Loop: Header=BB44_8 Depth=1
	s_or_b32 exec_lo, exec_lo, s12
	s_wait_loadcnt_dscnt 0x0
	s_barrier_signal -1
	s_barrier_wait -1
	ds_load_b128 v[28:31], v24
	ds_load_b128 v[32:35], v27
	ds_load_b128 v[36:39], v27 offset:16
	ds_load_b128 v[40:43], v24 offset:64
	s_add_co_i32 s20, s20, 1
	s_add_nc_u64 s[4:5], s[4:5], 4
	s_cmp_ge_i32 s20, s11
	v_add_nc_u32_e32 v25, 12, v25
	s_wait_dscnt 0x2
	v_fmac_f64_e32 v[20:21], v[28:29], v[32:33]
	v_fmac_f64_e32 v[0:1], v[30:31], v[32:33]
	s_delay_alu instid0(VALU_DEP_2) | instskip(NEXT) | instid1(VALU_DEP_2)
	v_fma_f64 v[12:13], -v[30:31], v[34:35], v[20:21]
	v_fmac_f64_e32 v[0:1], v[28:29], v[34:35]
	s_wait_dscnt 0x0
	s_delay_alu instid0(VALU_DEP_2) | instskip(NEXT) | instid1(VALU_DEP_2)
	v_fmac_f64_e32 v[12:13], v[40:41], v[36:37]
	v_fmac_f64_e32 v[0:1], v[42:43], v[36:37]
	s_delay_alu instid0(VALU_DEP_2) | instskip(NEXT) | instid1(VALU_DEP_2)
	v_fma_f64 v[12:13], -v[42:43], v[38:39], v[12:13]
	v_fmac_f64_e32 v[0:1], v[40:41], v[38:39]
	ds_load_b128 v[28:31], v24 offset:128
	ds_load_b128 v[32:35], v27 offset:32
	;; [unrolled: 1-line block ×4, first 2 shown]
	s_wait_dscnt 0x0
	s_barrier_signal -1
	s_barrier_wait -1
	v_fmac_f64_e32 v[12:13], v[28:29], v[32:33]
	v_fmac_f64_e32 v[0:1], v[30:31], v[32:33]
	s_delay_alu instid0(VALU_DEP_2) | instskip(NEXT) | instid1(VALU_DEP_2)
	v_fma_f64 v[12:13], -v[30:31], v[34:35], v[12:13]
	v_fmac_f64_e32 v[0:1], v[28:29], v[34:35]
	s_delay_alu instid0(VALU_DEP_2) | instskip(NEXT) | instid1(VALU_DEP_2)
	v_fmac_f64_e32 v[12:13], v[40:41], v[36:37]
	v_fmac_f64_e32 v[0:1], v[42:43], v[36:37]
	s_delay_alu instid0(VALU_DEP_2) | instskip(NEXT) | instid1(VALU_DEP_2)
	v_fma_f64 v[20:21], -v[42:43], v[38:39], v[12:13]
	v_fmac_f64_e32 v[0:1], v[40:41], v[38:39]
	s_cbranch_scc1 .LBB44_17
.LBB44_8:                               ; =>This Inner Loop Header: Depth=1
	s_and_saveexec_b32 s12, s18
	s_delay_alu instid0(SALU_CYCLE_1)
	s_xor_b32 s12, exec_lo, s12
; %bb.9:                                ;   in Loop: Header=BB44_8 Depth=1
	v_dual_mov_b32 v11, v10 :: v_dual_mov_b32 v12, v10
	v_mov_b32_e32 v13, v10
	ds_store_b128 v23, v[10:13]
; %bb.10:                               ;   in Loop: Header=BB44_8 Depth=1
	s_and_not1_saveexec_b32 s16, s12
	s_cbranch_execz .LBB44_15
; %bb.11:                               ;   in Loop: Header=BB44_8 Depth=1
	s_load_b32 s12, s[4:5], 0x0
	s_mov_b32 s13, -1
	s_and_b32 vcc_lo, exec_lo, s17
	s_wait_kmcnt 0x0
	s_sub_co_i32 s12, s12, s6
	s_delay_alu instid0(SALU_CYCLE_1)
	s_lshl_b32 s12, s12, 2
	s_cbranch_vccz .LBB44_13
; %bb.12:                               ;   in Loop: Header=BB44_8 Depth=1
	v_or_b32_e32 v12, s12, v22
	s_mov_b32 s13, 0
	s_delay_alu instid0(VALU_DEP_1) | instskip(NEXT) | instid1(VALU_DEP_1)
	v_ashrrev_i32_e32 v13, 31, v12
	v_mul_u64_e32 v[12:13], s[8:9], v[12:13]
	s_delay_alu instid0(VALU_DEP_1)
	v_lshl_add_u64 v[12:13], v[12:13], 4, v[16:17]
	global_load_b128 v[28:31], v[12:13], off
	s_wait_loadcnt 0x0
	ds_store_2addr_b64 v23, v[28:29], v[30:31] offset1:1
.LBB44_13:                              ;   in Loop: Header=BB44_8 Depth=1
	s_and_not1_b32 vcc_lo, exec_lo, s13
	s_cbranch_vccnz .LBB44_15
; %bb.14:                               ;   in Loop: Header=BB44_8 Depth=1
	s_ashr_i32 s13, s12, 31
	s_delay_alu instid0(SALU_CYCLE_1)
	v_lshl_add_u64 v[12:13], s[12:13], 4, v[18:19]
	global_load_b128 v[28:31], v[12:13], off
	s_wait_loadcnt 0x0
	ds_store_2addr_b64 v23, v[28:29], v[30:31] offset1:1
.LBB44_15:                              ;   in Loop: Header=BB44_8 Depth=1
	s_or_b32 exec_lo, exec_lo, s16
	s_and_saveexec_b32 s12, s19
	s_cbranch_execz .LBB44_7
; %bb.16:                               ;   in Loop: Header=BB44_8 Depth=1
	global_load_b128 v[28:31], v25, s[14:15] scale_offset
	s_wait_loadcnt 0x0
	ds_store_2addr_b64 v26, v[28:29], v[30:31] offset1:1
	s_branch .LBB44_7
.LBB44_17:
	s_load_b64 s[4:5], s[0:1], 0x60
	s_and_b32 s2, s7, s2
	s_delay_alu instid0(SALU_CYCLE_1) | instskip(NEXT) | instid1(SALU_CYCLE_1)
	s_and_b32 s2, s2, s3
	s_and_b32 exec_lo, exec_lo, s2
	s_cbranch_execz .LBB44_22
; %bb.18:
	s_delay_alu instid0(VALU_DEP_1)
	v_mul_f64_e64 v[10:11], v[0:1], -v[8:9]
	v_mul_f64_e32 v[12:13], v[6:7], v[0:1]
	s_wait_xcnt 0x0
	s_load_b64 s[0:1], s[0:1], 0x68
	s_wait_loadcnt_dscnt 0x0
	v_cmp_neq_f64_e32 vcc_lo, 0, v[2:3]
	v_mad_u32 v0, s10, 3, v22
	s_delay_alu instid0(VALU_DEP_1)
	v_ashrrev_i32_e32 v1, 31, v0
	s_wait_kmcnt 0x0
	v_mul_u64_e32 v[14:15], s[0:1], v[14:15]
	v_cmp_neq_f64_e64 s0, 0, v[4:5]
	v_fmac_f64_e32 v[10:11], v[6:7], v[20:21]
	v_fmac_f64_e32 v[12:13], v[8:9], v[20:21]
	s_delay_alu instid0(VALU_DEP_4) | instskip(SKIP_1) | instid1(SALU_CYCLE_1)
	v_lshl_add_u64 v[6:7], v[14:15], 4, s[4:5]
	s_or_b32 s0, vcc_lo, s0
	s_and_saveexec_b32 s1, s0
	s_delay_alu instid0(SALU_CYCLE_1)
	s_xor_b32 s0, exec_lo, s1
	s_cbranch_execz .LBB44_20
; %bb.19:
	v_lshl_add_u64 v[0:1], v[0:1], 4, v[6:7]
	global_load_b128 v[6:9], v[0:1], off
	s_wait_loadcnt 0x0
	v_fmac_f64_e32 v[10:11], v[2:3], v[6:7]
	v_fmac_f64_e32 v[12:13], v[4:5], v[6:7]
                                        ; implicit-def: $vgpr6_vgpr7
	s_delay_alu instid0(VALU_DEP_2) | instskip(NEXT) | instid1(VALU_DEP_2)
	v_fma_f64 v[10:11], -v[4:5], v[8:9], v[10:11]
	v_fmac_f64_e32 v[12:13], v[2:3], v[8:9]
	global_store_b128 v[0:1], v[10:13], off
                                        ; implicit-def: $vgpr0
                                        ; implicit-def: $vgpr10_vgpr11
.LBB44_20:
	s_wait_xcnt 0x0
	s_and_not1_saveexec_b32 s0, s0
	s_cbranch_execz .LBB44_22
; %bb.21:
	v_lshl_add_u64 v[0:1], v[0:1], 4, v[6:7]
	global_store_b128 v[0:1], v[10:13], off
.LBB44_22:
	s_endpgm
	.section	.rodata,"a",@progbits
	.p2align	6, 0x0
	.amdhsa_kernel _ZN9rocsparseL29gebsrmm_small_blockdim_kernelILi3ELi4ELi4ELi16E21rocsparse_complex_numIdEEEv20rocsparse_direction_20rocsparse_operation_iiNS_24const_host_device_scalarIT3_EEPKiS9_PKS6_iiSB_lS7_PS6_l21rocsparse_index_base_b
		.amdhsa_group_segment_fixed_size 1280
		.amdhsa_private_segment_fixed_size 0
		.amdhsa_kernarg_size 120
		.amdhsa_user_sgpr_count 2
		.amdhsa_user_sgpr_dispatch_ptr 0
		.amdhsa_user_sgpr_queue_ptr 0
		.amdhsa_user_sgpr_kernarg_segment_ptr 1
		.amdhsa_user_sgpr_dispatch_id 0
		.amdhsa_user_sgpr_kernarg_preload_length 0
		.amdhsa_user_sgpr_kernarg_preload_offset 0
		.amdhsa_user_sgpr_private_segment_size 0
		.amdhsa_wavefront_size32 1
		.amdhsa_uses_dynamic_stack 0
		.amdhsa_enable_private_segment 0
		.amdhsa_system_sgpr_workgroup_id_x 1
		.amdhsa_system_sgpr_workgroup_id_y 1
		.amdhsa_system_sgpr_workgroup_id_z 0
		.amdhsa_system_sgpr_workgroup_info 0
		.amdhsa_system_vgpr_workitem_id 1
		.amdhsa_next_free_vgpr 44
		.amdhsa_next_free_sgpr 24
		.amdhsa_named_barrier_count 0
		.amdhsa_reserve_vcc 1
		.amdhsa_float_round_mode_32 0
		.amdhsa_float_round_mode_16_64 0
		.amdhsa_float_denorm_mode_32 3
		.amdhsa_float_denorm_mode_16_64 3
		.amdhsa_fp16_overflow 0
		.amdhsa_memory_ordered 1
		.amdhsa_forward_progress 1
		.amdhsa_inst_pref_size 10
		.amdhsa_round_robin_scheduling 0
		.amdhsa_exception_fp_ieee_invalid_op 0
		.amdhsa_exception_fp_denorm_src 0
		.amdhsa_exception_fp_ieee_div_zero 0
		.amdhsa_exception_fp_ieee_overflow 0
		.amdhsa_exception_fp_ieee_underflow 0
		.amdhsa_exception_fp_ieee_inexact 0
		.amdhsa_exception_int_div_zero 0
	.end_amdhsa_kernel
	.section	.text._ZN9rocsparseL29gebsrmm_small_blockdim_kernelILi3ELi4ELi4ELi16E21rocsparse_complex_numIdEEEv20rocsparse_direction_20rocsparse_operation_iiNS_24const_host_device_scalarIT3_EEPKiS9_PKS6_iiSB_lS7_PS6_l21rocsparse_index_base_b,"axG",@progbits,_ZN9rocsparseL29gebsrmm_small_blockdim_kernelILi3ELi4ELi4ELi16E21rocsparse_complex_numIdEEEv20rocsparse_direction_20rocsparse_operation_iiNS_24const_host_device_scalarIT3_EEPKiS9_PKS6_iiSB_lS7_PS6_l21rocsparse_index_base_b,comdat
.Lfunc_end44:
	.size	_ZN9rocsparseL29gebsrmm_small_blockdim_kernelILi3ELi4ELi4ELi16E21rocsparse_complex_numIdEEEv20rocsparse_direction_20rocsparse_operation_iiNS_24const_host_device_scalarIT3_EEPKiS9_PKS6_iiSB_lS7_PS6_l21rocsparse_index_base_b, .Lfunc_end44-_ZN9rocsparseL29gebsrmm_small_blockdim_kernelILi3ELi4ELi4ELi16E21rocsparse_complex_numIdEEEv20rocsparse_direction_20rocsparse_operation_iiNS_24const_host_device_scalarIT3_EEPKiS9_PKS6_iiSB_lS7_PS6_l21rocsparse_index_base_b
                                        ; -- End function
	.set _ZN9rocsparseL29gebsrmm_small_blockdim_kernelILi3ELi4ELi4ELi16E21rocsparse_complex_numIdEEEv20rocsparse_direction_20rocsparse_operation_iiNS_24const_host_device_scalarIT3_EEPKiS9_PKS6_iiSB_lS7_PS6_l21rocsparse_index_base_b.num_vgpr, 44
	.set _ZN9rocsparseL29gebsrmm_small_blockdim_kernelILi3ELi4ELi4ELi16E21rocsparse_complex_numIdEEEv20rocsparse_direction_20rocsparse_operation_iiNS_24const_host_device_scalarIT3_EEPKiS9_PKS6_iiSB_lS7_PS6_l21rocsparse_index_base_b.num_agpr, 0
	.set _ZN9rocsparseL29gebsrmm_small_blockdim_kernelILi3ELi4ELi4ELi16E21rocsparse_complex_numIdEEEv20rocsparse_direction_20rocsparse_operation_iiNS_24const_host_device_scalarIT3_EEPKiS9_PKS6_iiSB_lS7_PS6_l21rocsparse_index_base_b.numbered_sgpr, 24
	.set _ZN9rocsparseL29gebsrmm_small_blockdim_kernelILi3ELi4ELi4ELi16E21rocsparse_complex_numIdEEEv20rocsparse_direction_20rocsparse_operation_iiNS_24const_host_device_scalarIT3_EEPKiS9_PKS6_iiSB_lS7_PS6_l21rocsparse_index_base_b.num_named_barrier, 0
	.set _ZN9rocsparseL29gebsrmm_small_blockdim_kernelILi3ELi4ELi4ELi16E21rocsparse_complex_numIdEEEv20rocsparse_direction_20rocsparse_operation_iiNS_24const_host_device_scalarIT3_EEPKiS9_PKS6_iiSB_lS7_PS6_l21rocsparse_index_base_b.private_seg_size, 0
	.set _ZN9rocsparseL29gebsrmm_small_blockdim_kernelILi3ELi4ELi4ELi16E21rocsparse_complex_numIdEEEv20rocsparse_direction_20rocsparse_operation_iiNS_24const_host_device_scalarIT3_EEPKiS9_PKS6_iiSB_lS7_PS6_l21rocsparse_index_base_b.uses_vcc, 1
	.set _ZN9rocsparseL29gebsrmm_small_blockdim_kernelILi3ELi4ELi4ELi16E21rocsparse_complex_numIdEEEv20rocsparse_direction_20rocsparse_operation_iiNS_24const_host_device_scalarIT3_EEPKiS9_PKS6_iiSB_lS7_PS6_l21rocsparse_index_base_b.uses_flat_scratch, 0
	.set _ZN9rocsparseL29gebsrmm_small_blockdim_kernelILi3ELi4ELi4ELi16E21rocsparse_complex_numIdEEEv20rocsparse_direction_20rocsparse_operation_iiNS_24const_host_device_scalarIT3_EEPKiS9_PKS6_iiSB_lS7_PS6_l21rocsparse_index_base_b.has_dyn_sized_stack, 0
	.set _ZN9rocsparseL29gebsrmm_small_blockdim_kernelILi3ELi4ELi4ELi16E21rocsparse_complex_numIdEEEv20rocsparse_direction_20rocsparse_operation_iiNS_24const_host_device_scalarIT3_EEPKiS9_PKS6_iiSB_lS7_PS6_l21rocsparse_index_base_b.has_recursion, 0
	.set _ZN9rocsparseL29gebsrmm_small_blockdim_kernelILi3ELi4ELi4ELi16E21rocsparse_complex_numIdEEEv20rocsparse_direction_20rocsparse_operation_iiNS_24const_host_device_scalarIT3_EEPKiS9_PKS6_iiSB_lS7_PS6_l21rocsparse_index_base_b.has_indirect_call, 0
	.section	.AMDGPU.csdata,"",@progbits
; Kernel info:
; codeLenInByte = 1272
; TotalNumSgprs: 26
; NumVgprs: 44
; ScratchSize: 0
; MemoryBound: 0
; FloatMode: 240
; IeeeMode: 1
; LDSByteSize: 1280 bytes/workgroup (compile time only)
; SGPRBlocks: 0
; VGPRBlocks: 2
; NumSGPRsForWavesPerEU: 26
; NumVGPRsForWavesPerEU: 44
; NamedBarCnt: 0
; Occupancy: 16
; WaveLimiterHint : 0
; COMPUTE_PGM_RSRC2:SCRATCH_EN: 0
; COMPUTE_PGM_RSRC2:USER_SGPR: 2
; COMPUTE_PGM_RSRC2:TRAP_HANDLER: 0
; COMPUTE_PGM_RSRC2:TGID_X_EN: 1
; COMPUTE_PGM_RSRC2:TGID_Y_EN: 1
; COMPUTE_PGM_RSRC2:TGID_Z_EN: 0
; COMPUTE_PGM_RSRC2:TIDIG_COMP_CNT: 1
	.section	.text._ZN9rocsparseL29gebsrmm_small_blockdim_kernelILi4ELi1ELi4ELi16E21rocsparse_complex_numIdEEEv20rocsparse_direction_20rocsparse_operation_iiNS_24const_host_device_scalarIT3_EEPKiS9_PKS6_iiSB_lS7_PS6_l21rocsparse_index_base_b,"axG",@progbits,_ZN9rocsparseL29gebsrmm_small_blockdim_kernelILi4ELi1ELi4ELi16E21rocsparse_complex_numIdEEEv20rocsparse_direction_20rocsparse_operation_iiNS_24const_host_device_scalarIT3_EEPKiS9_PKS6_iiSB_lS7_PS6_l21rocsparse_index_base_b,comdat
	.globl	_ZN9rocsparseL29gebsrmm_small_blockdim_kernelILi4ELi1ELi4ELi16E21rocsparse_complex_numIdEEEv20rocsparse_direction_20rocsparse_operation_iiNS_24const_host_device_scalarIT3_EEPKiS9_PKS6_iiSB_lS7_PS6_l21rocsparse_index_base_b ; -- Begin function _ZN9rocsparseL29gebsrmm_small_blockdim_kernelILi4ELi1ELi4ELi16E21rocsparse_complex_numIdEEEv20rocsparse_direction_20rocsparse_operation_iiNS_24const_host_device_scalarIT3_EEPKiS9_PKS6_iiSB_lS7_PS6_l21rocsparse_index_base_b
	.p2align	8
	.type	_ZN9rocsparseL29gebsrmm_small_blockdim_kernelILi4ELi1ELi4ELi16E21rocsparse_complex_numIdEEEv20rocsparse_direction_20rocsparse_operation_iiNS_24const_host_device_scalarIT3_EEPKiS9_PKS6_iiSB_lS7_PS6_l21rocsparse_index_base_b,@function
_ZN9rocsparseL29gebsrmm_small_blockdim_kernelILi4ELi1ELi4ELi16E21rocsparse_complex_numIdEEEv20rocsparse_direction_20rocsparse_operation_iiNS_24const_host_device_scalarIT3_EEPKiS9_PKS6_iiSB_lS7_PS6_l21rocsparse_index_base_b: ; @_ZN9rocsparseL29gebsrmm_small_blockdim_kernelILi4ELi1ELi4ELi16E21rocsparse_complex_numIdEEEv20rocsparse_direction_20rocsparse_operation_iiNS_24const_host_device_scalarIT3_EEPKiS9_PKS6_iiSB_lS7_PS6_l21rocsparse_index_base_b
; %bb.0:
	s_clause 0x1
	s_load_b64 s[6:7], s[0:1], 0x70
	s_load_b64 s[2:3], s[0:1], 0x10
	v_mov_b32_e32 v1, 0
	s_add_nc_u64 s[4:5], s[0:1], 16
	s_load_b128 s[8:11], s[0:1], 0x48
	s_wait_kmcnt 0x0
	s_bitcmp1_b32 s7, 0
	s_cselect_b32 s3, s5, s3
	s_cselect_b32 s2, s4, s2
	flat_load_b128 v[6:9], v1, s[2:3]
	s_wait_xcnt 0x0
	s_add_nc_u64 s[2:3], s[0:1], 0x50
	s_delay_alu instid0(SALU_CYCLE_1)
	s_cselect_b32 s3, s3, s11
	s_cselect_b32 s2, s2, s10
	flat_load_b128 v[2:5], v1, s[2:3]
	s_wait_loadcnt_dscnt 0x101
	v_cmp_eq_f64_e32 vcc_lo, 0, v[6:7]
	s_wait_xcnt 0x0
	v_cmp_eq_f64_e64 s2, 0, v[8:9]
	s_and_b32 s4, vcc_lo, s2
	s_mov_b32 s2, -1
	s_and_saveexec_b32 s3, s4
	s_cbranch_execz .LBB45_2
; %bb.1:
	s_wait_loadcnt_dscnt 0x0
	v_cmp_neq_f64_e32 vcc_lo, 1.0, v[2:3]
	v_cmp_neq_f64_e64 s2, 0, v[4:5]
	s_or_b32 s2, vcc_lo, s2
	s_delay_alu instid0(SALU_CYCLE_1)
	s_or_not1_b32 s2, s2, exec_lo
.LBB45_2:
	s_or_b32 exec_lo, exec_lo, s3
	s_and_saveexec_b32 s3, s2
	s_cbranch_execz .LBB45_22
; %bb.3:
	s_load_b96 s[16:18], s[0:1], 0x4
	s_bfe_u32 s2, ttmp6, 0x4000c
	s_and_b32 s3, ttmp6, 15
	s_add_co_i32 s2, s2, 1
	s_mov_b32 s20, 0
	s_mul_i32 s4, ttmp9, s2
	s_getreg_b32 s2, hwreg(HW_REG_IB_STS2, 6, 4)
	s_add_co_i32 s3, s3, s4
	s_cmp_eq_u32 s2, 0
	s_mov_b32 s11, 0
	s_cselect_b32 s10, ttmp9, s3
	s_wait_kmcnt 0x0
	s_cmp_lt_i32 s10, s17
	s_cselect_b32 s7, -1, 0
	s_cmp_ge_i32 s10, s17
	s_cbranch_scc1 .LBB45_5
; %bb.4:
	s_load_b64 s[4:5], s[0:1], 0x20
	s_ashr_i32 s11, s10, 31
	s_delay_alu instid0(SALU_CYCLE_1)
	s_lshl_b64 s[12:13], s[10:11], 2
	s_wait_kmcnt 0x0
	s_add_nc_u64 s[4:5], s[4:5], s[12:13]
	s_load_b64 s[12:13], s[4:5], 0x0
	s_wait_kmcnt 0x0
	s_sub_co_i32 s20, s12, s6
	s_sub_co_i32 s11, s13, s6
.LBB45_5:
	s_bfe_u32 s3, ttmp6, 0x40010
	s_bfe_u32 s4, ttmp6, 0x40004
	s_add_co_i32 s3, s3, 1
	v_bfe_u32 v10, v0, 10, 10
	s_mul_i32 s3, ttmp7, s3
	v_and_b32_e32 v22, 0x3ff, v0
	s_add_co_i32 s4, s4, s3
	s_cmp_eq_u32 s2, 0
	v_mov_b64_e32 v[0:1], 0
	s_cselect_b32 s2, ttmp7, s4
	v_mov_b64_e32 v[16:17], 0
	v_lshl_add_u32 v14, s2, 4, v10
	v_cmp_gt_u32_e64 s3, 4, v22
	s_cmp_ge_i32 s20, s11
	v_ashrrev_i32_e32 v15, 31, v14
	v_cmp_gt_i32_e64 s2, s18, v14
	s_cbranch_scc1 .LBB45_17
; %bb.6:
	v_mul_u64_e32 v[12:13], s[8:9], v[14:15]
	s_clause 0x1
	s_load_b64 s[22:23], s[0:1], 0x40
	s_load_b128 s[12:15], s[0:1], 0x28
	v_dual_lshlrev_b32 v11, 2, v10 :: v_dual_lshlrev_b32 v24, 6, v10
	v_cmp_ne_u32_e32 vcc_lo, 0, v22
	v_cmp_eq_u32_e64 s4, 0, v10
	s_xor_b32 s5, s2, -1
	v_add_lshl_u32 v26, v11, v22, 4
	v_mov_b64_e32 v[0:1], 0
	s_or_b32 s17, vcc_lo, s5
	s_and_b32 s18, s3, s4
	s_cmp_lg_u32 s16, 0x6f
	v_mov_b64_e32 v[16:17], 0
	s_cselect_b32 s16, -1, 0
	s_ashr_i32 s21, s20, 31
	v_lshl_add_u32 v23, v22, 4, 0x400
	v_lshl_add_u32 v25, s20, 2, v22
	v_dual_mov_b32 v10, 0 :: v_dual_add_nc_u32 v27, 0x400, v26
	s_lshl_b64 s[4:5], s[20:21], 2
	s_wait_kmcnt 0x0
	v_lshl_add_u64 v[18:19], v[14:15], 4, s[22:23]
	s_add_nc_u64 s[4:5], s[12:13], s[4:5]
	v_lshl_add_u64 v[20:21], v[12:13], 4, s[22:23]
	s_branch .LBB45_8
.LBB45_7:                               ;   in Loop: Header=BB45_8 Depth=1
	s_or_b32 exec_lo, exec_lo, s12
	s_wait_loadcnt_dscnt 0x0
	s_barrier_signal -1
	s_barrier_wait -1
	ds_load_b128 v[28:31], v23
	ds_load_b128 v[32:35], v24
	s_add_co_i32 s20, s20, 1
	s_add_nc_u64 s[4:5], s[4:5], 4
	s_cmp_ge_i32 s20, s11
	s_wait_dscnt 0x0
	s_barrier_signal -1
	s_barrier_wait -1
	v_add_nc_u32_e32 v25, 4, v25
	v_fmac_f64_e32 v[16:17], v[28:29], v[32:33]
	v_fmac_f64_e32 v[0:1], v[30:31], v[32:33]
	s_delay_alu instid0(VALU_DEP_2) | instskip(NEXT) | instid1(VALU_DEP_2)
	v_fma_f64 v[16:17], -v[30:31], v[34:35], v[16:17]
	v_fmac_f64_e32 v[0:1], v[28:29], v[34:35]
	s_cbranch_scc1 .LBB45_17
.LBB45_8:                               ; =>This Inner Loop Header: Depth=1
	s_and_saveexec_b32 s12, s17
	s_delay_alu instid0(SALU_CYCLE_1)
	s_xor_b32 s12, exec_lo, s12
; %bb.9:                                ;   in Loop: Header=BB45_8 Depth=1
	v_dual_mov_b32 v11, v10 :: v_dual_mov_b32 v12, v10
	v_mov_b32_e32 v13, v10
	ds_store_b128 v26, v[10:13]
; %bb.10:                               ;   in Loop: Header=BB45_8 Depth=1
	s_and_not1_saveexec_b32 s19, s12
	s_cbranch_execz .LBB45_15
; %bb.11:                               ;   in Loop: Header=BB45_8 Depth=1
	s_load_b32 s12, s[4:5], 0x0
	s_mov_b32 s21, -1
	s_and_b32 vcc_lo, exec_lo, s16
	s_wait_kmcnt 0x0
	s_sub_co_i32 s12, s12, s6
	s_delay_alu instid0(SALU_CYCLE_1)
	s_ashr_i32 s13, s12, 31
	s_cbranch_vccz .LBB45_13
; %bb.12:                               ;   in Loop: Header=BB45_8 Depth=1
	s_mul_u64 s[22:23], s[8:9], s[12:13]
	s_mov_b32 s21, 0
	v_lshl_add_u64 v[12:13], s[22:23], 4, v[18:19]
	global_load_b128 v[28:31], v[12:13], off
	s_wait_loadcnt 0x0
	ds_store_2addr_b64 v26, v[28:29], v[30:31] offset1:1
.LBB45_13:                              ;   in Loop: Header=BB45_8 Depth=1
	s_and_not1_b32 vcc_lo, exec_lo, s21
	s_cbranch_vccnz .LBB45_15
; %bb.14:                               ;   in Loop: Header=BB45_8 Depth=1
	v_lshl_add_u64 v[12:13], s[12:13], 4, v[20:21]
	global_load_b128 v[28:31], v[12:13], off
	s_wait_loadcnt 0x0
	ds_store_2addr_b64 v26, v[28:29], v[30:31] offset1:1
.LBB45_15:                              ;   in Loop: Header=BB45_8 Depth=1
	s_or_b32 exec_lo, exec_lo, s19
	s_and_saveexec_b32 s12, s18
	s_cbranch_execz .LBB45_7
; %bb.16:                               ;   in Loop: Header=BB45_8 Depth=1
	global_load_b128 v[28:31], v25, s[14:15] scale_offset
	s_wait_loadcnt 0x0
	ds_store_2addr_b64 v27, v[28:29], v[30:31] offset1:1
	s_branch .LBB45_7
.LBB45_17:
	s_load_b64 s[4:5], s[0:1], 0x60
	s_and_b32 s2, s7, s2
	s_delay_alu instid0(SALU_CYCLE_1) | instskip(NEXT) | instid1(SALU_CYCLE_1)
	s_and_b32 s2, s2, s3
	s_and_b32 exec_lo, exec_lo, s2
	s_cbranch_execz .LBB45_22
; %bb.18:
	s_delay_alu instid0(VALU_DEP_1)
	v_mul_f64_e64 v[10:11], v[0:1], -v[8:9]
	v_mul_f64_e32 v[12:13], v[6:7], v[0:1]
	s_wait_xcnt 0x0
	s_load_b64 s[0:1], s[0:1], 0x68
	s_wait_loadcnt_dscnt 0x0
	v_cmp_neq_f64_e32 vcc_lo, 0, v[2:3]
	v_lshl_add_u32 v0, s10, 2, v22
	s_delay_alu instid0(VALU_DEP_1)
	v_ashrrev_i32_e32 v1, 31, v0
	s_wait_kmcnt 0x0
	v_mul_u64_e32 v[14:15], s[0:1], v[14:15]
	v_cmp_neq_f64_e64 s0, 0, v[4:5]
	v_fmac_f64_e32 v[10:11], v[6:7], v[16:17]
	v_fmac_f64_e32 v[12:13], v[8:9], v[16:17]
	s_delay_alu instid0(VALU_DEP_4) | instskip(SKIP_1) | instid1(SALU_CYCLE_1)
	v_lshl_add_u64 v[6:7], v[14:15], 4, s[4:5]
	s_or_b32 s0, vcc_lo, s0
	s_and_saveexec_b32 s1, s0
	s_delay_alu instid0(SALU_CYCLE_1)
	s_xor_b32 s0, exec_lo, s1
	s_cbranch_execz .LBB45_20
; %bb.19:
	v_lshl_add_u64 v[0:1], v[0:1], 4, v[6:7]
	global_load_b128 v[6:9], v[0:1], off
	s_wait_loadcnt 0x0
	v_fmac_f64_e32 v[10:11], v[2:3], v[6:7]
	v_fmac_f64_e32 v[12:13], v[4:5], v[6:7]
                                        ; implicit-def: $vgpr6_vgpr7
	s_delay_alu instid0(VALU_DEP_2) | instskip(NEXT) | instid1(VALU_DEP_2)
	v_fma_f64 v[10:11], -v[4:5], v[8:9], v[10:11]
	v_fmac_f64_e32 v[12:13], v[2:3], v[8:9]
	global_store_b128 v[0:1], v[10:13], off
                                        ; implicit-def: $vgpr0
                                        ; implicit-def: $vgpr10_vgpr11
.LBB45_20:
	s_wait_xcnt 0x0
	s_and_not1_saveexec_b32 s0, s0
	s_cbranch_execz .LBB45_22
; %bb.21:
	v_lshl_add_u64 v[0:1], v[0:1], 4, v[6:7]
	global_store_b128 v[0:1], v[10:13], off
.LBB45_22:
	s_endpgm
	.section	.rodata,"a",@progbits
	.p2align	6, 0x0
	.amdhsa_kernel _ZN9rocsparseL29gebsrmm_small_blockdim_kernelILi4ELi1ELi4ELi16E21rocsparse_complex_numIdEEEv20rocsparse_direction_20rocsparse_operation_iiNS_24const_host_device_scalarIT3_EEPKiS9_PKS6_iiSB_lS7_PS6_l21rocsparse_index_base_b
		.amdhsa_group_segment_fixed_size 1280
		.amdhsa_private_segment_fixed_size 0
		.amdhsa_kernarg_size 120
		.amdhsa_user_sgpr_count 2
		.amdhsa_user_sgpr_dispatch_ptr 0
		.amdhsa_user_sgpr_queue_ptr 0
		.amdhsa_user_sgpr_kernarg_segment_ptr 1
		.amdhsa_user_sgpr_dispatch_id 0
		.amdhsa_user_sgpr_kernarg_preload_length 0
		.amdhsa_user_sgpr_kernarg_preload_offset 0
		.amdhsa_user_sgpr_private_segment_size 0
		.amdhsa_wavefront_size32 1
		.amdhsa_uses_dynamic_stack 0
		.amdhsa_enable_private_segment 0
		.amdhsa_system_sgpr_workgroup_id_x 1
		.amdhsa_system_sgpr_workgroup_id_y 1
		.amdhsa_system_sgpr_workgroup_id_z 0
		.amdhsa_system_sgpr_workgroup_info 0
		.amdhsa_system_vgpr_workitem_id 1
		.amdhsa_next_free_vgpr 36
		.amdhsa_next_free_sgpr 24
		.amdhsa_named_barrier_count 0
		.amdhsa_reserve_vcc 1
		.amdhsa_float_round_mode_32 0
		.amdhsa_float_round_mode_16_64 0
		.amdhsa_float_denorm_mode_32 3
		.amdhsa_float_denorm_mode_16_64 3
		.amdhsa_fp16_overflow 0
		.amdhsa_memory_ordered 1
		.amdhsa_forward_progress 1
		.amdhsa_inst_pref_size 9
		.amdhsa_round_robin_scheduling 0
		.amdhsa_exception_fp_ieee_invalid_op 0
		.amdhsa_exception_fp_denorm_src 0
		.amdhsa_exception_fp_ieee_div_zero 0
		.amdhsa_exception_fp_ieee_overflow 0
		.amdhsa_exception_fp_ieee_underflow 0
		.amdhsa_exception_fp_ieee_inexact 0
		.amdhsa_exception_int_div_zero 0
	.end_amdhsa_kernel
	.section	.text._ZN9rocsparseL29gebsrmm_small_blockdim_kernelILi4ELi1ELi4ELi16E21rocsparse_complex_numIdEEEv20rocsparse_direction_20rocsparse_operation_iiNS_24const_host_device_scalarIT3_EEPKiS9_PKS6_iiSB_lS7_PS6_l21rocsparse_index_base_b,"axG",@progbits,_ZN9rocsparseL29gebsrmm_small_blockdim_kernelILi4ELi1ELi4ELi16E21rocsparse_complex_numIdEEEv20rocsparse_direction_20rocsparse_operation_iiNS_24const_host_device_scalarIT3_EEPKiS9_PKS6_iiSB_lS7_PS6_l21rocsparse_index_base_b,comdat
.Lfunc_end45:
	.size	_ZN9rocsparseL29gebsrmm_small_blockdim_kernelILi4ELi1ELi4ELi16E21rocsparse_complex_numIdEEEv20rocsparse_direction_20rocsparse_operation_iiNS_24const_host_device_scalarIT3_EEPKiS9_PKS6_iiSB_lS7_PS6_l21rocsparse_index_base_b, .Lfunc_end45-_ZN9rocsparseL29gebsrmm_small_blockdim_kernelILi4ELi1ELi4ELi16E21rocsparse_complex_numIdEEEv20rocsparse_direction_20rocsparse_operation_iiNS_24const_host_device_scalarIT3_EEPKiS9_PKS6_iiSB_lS7_PS6_l21rocsparse_index_base_b
                                        ; -- End function
	.set _ZN9rocsparseL29gebsrmm_small_blockdim_kernelILi4ELi1ELi4ELi16E21rocsparse_complex_numIdEEEv20rocsparse_direction_20rocsparse_operation_iiNS_24const_host_device_scalarIT3_EEPKiS9_PKS6_iiSB_lS7_PS6_l21rocsparse_index_base_b.num_vgpr, 36
	.set _ZN9rocsparseL29gebsrmm_small_blockdim_kernelILi4ELi1ELi4ELi16E21rocsparse_complex_numIdEEEv20rocsparse_direction_20rocsparse_operation_iiNS_24const_host_device_scalarIT3_EEPKiS9_PKS6_iiSB_lS7_PS6_l21rocsparse_index_base_b.num_agpr, 0
	.set _ZN9rocsparseL29gebsrmm_small_blockdim_kernelILi4ELi1ELi4ELi16E21rocsparse_complex_numIdEEEv20rocsparse_direction_20rocsparse_operation_iiNS_24const_host_device_scalarIT3_EEPKiS9_PKS6_iiSB_lS7_PS6_l21rocsparse_index_base_b.numbered_sgpr, 24
	.set _ZN9rocsparseL29gebsrmm_small_blockdim_kernelILi4ELi1ELi4ELi16E21rocsparse_complex_numIdEEEv20rocsparse_direction_20rocsparse_operation_iiNS_24const_host_device_scalarIT3_EEPKiS9_PKS6_iiSB_lS7_PS6_l21rocsparse_index_base_b.num_named_barrier, 0
	.set _ZN9rocsparseL29gebsrmm_small_blockdim_kernelILi4ELi1ELi4ELi16E21rocsparse_complex_numIdEEEv20rocsparse_direction_20rocsparse_operation_iiNS_24const_host_device_scalarIT3_EEPKiS9_PKS6_iiSB_lS7_PS6_l21rocsparse_index_base_b.private_seg_size, 0
	.set _ZN9rocsparseL29gebsrmm_small_blockdim_kernelILi4ELi1ELi4ELi16E21rocsparse_complex_numIdEEEv20rocsparse_direction_20rocsparse_operation_iiNS_24const_host_device_scalarIT3_EEPKiS9_PKS6_iiSB_lS7_PS6_l21rocsparse_index_base_b.uses_vcc, 1
	.set _ZN9rocsparseL29gebsrmm_small_blockdim_kernelILi4ELi1ELi4ELi16E21rocsparse_complex_numIdEEEv20rocsparse_direction_20rocsparse_operation_iiNS_24const_host_device_scalarIT3_EEPKiS9_PKS6_iiSB_lS7_PS6_l21rocsparse_index_base_b.uses_flat_scratch, 0
	.set _ZN9rocsparseL29gebsrmm_small_blockdim_kernelILi4ELi1ELi4ELi16E21rocsparse_complex_numIdEEEv20rocsparse_direction_20rocsparse_operation_iiNS_24const_host_device_scalarIT3_EEPKiS9_PKS6_iiSB_lS7_PS6_l21rocsparse_index_base_b.has_dyn_sized_stack, 0
	.set _ZN9rocsparseL29gebsrmm_small_blockdim_kernelILi4ELi1ELi4ELi16E21rocsparse_complex_numIdEEEv20rocsparse_direction_20rocsparse_operation_iiNS_24const_host_device_scalarIT3_EEPKiS9_PKS6_iiSB_lS7_PS6_l21rocsparse_index_base_b.has_recursion, 0
	.set _ZN9rocsparseL29gebsrmm_small_blockdim_kernelILi4ELi1ELi4ELi16E21rocsparse_complex_numIdEEEv20rocsparse_direction_20rocsparse_operation_iiNS_24const_host_device_scalarIT3_EEPKiS9_PKS6_iiSB_lS7_PS6_l21rocsparse_index_base_b.has_indirect_call, 0
	.section	.AMDGPU.csdata,"",@progbits
; Kernel info:
; codeLenInByte = 1064
; TotalNumSgprs: 26
; NumVgprs: 36
; ScratchSize: 0
; MemoryBound: 0
; FloatMode: 240
; IeeeMode: 1
; LDSByteSize: 1280 bytes/workgroup (compile time only)
; SGPRBlocks: 0
; VGPRBlocks: 2
; NumSGPRsForWavesPerEU: 26
; NumVGPRsForWavesPerEU: 36
; NamedBarCnt: 0
; Occupancy: 16
; WaveLimiterHint : 0
; COMPUTE_PGM_RSRC2:SCRATCH_EN: 0
; COMPUTE_PGM_RSRC2:USER_SGPR: 2
; COMPUTE_PGM_RSRC2:TRAP_HANDLER: 0
; COMPUTE_PGM_RSRC2:TGID_X_EN: 1
; COMPUTE_PGM_RSRC2:TGID_Y_EN: 1
; COMPUTE_PGM_RSRC2:TGID_Z_EN: 0
; COMPUTE_PGM_RSRC2:TIDIG_COMP_CNT: 1
	.section	.text._ZN9rocsparseL29gebsrmm_small_blockdim_kernelILi4ELi2ELi4ELi16E21rocsparse_complex_numIdEEEv20rocsparse_direction_20rocsparse_operation_iiNS_24const_host_device_scalarIT3_EEPKiS9_PKS6_iiSB_lS7_PS6_l21rocsparse_index_base_b,"axG",@progbits,_ZN9rocsparseL29gebsrmm_small_blockdim_kernelILi4ELi2ELi4ELi16E21rocsparse_complex_numIdEEEv20rocsparse_direction_20rocsparse_operation_iiNS_24const_host_device_scalarIT3_EEPKiS9_PKS6_iiSB_lS7_PS6_l21rocsparse_index_base_b,comdat
	.globl	_ZN9rocsparseL29gebsrmm_small_blockdim_kernelILi4ELi2ELi4ELi16E21rocsparse_complex_numIdEEEv20rocsparse_direction_20rocsparse_operation_iiNS_24const_host_device_scalarIT3_EEPKiS9_PKS6_iiSB_lS7_PS6_l21rocsparse_index_base_b ; -- Begin function _ZN9rocsparseL29gebsrmm_small_blockdim_kernelILi4ELi2ELi4ELi16E21rocsparse_complex_numIdEEEv20rocsparse_direction_20rocsparse_operation_iiNS_24const_host_device_scalarIT3_EEPKiS9_PKS6_iiSB_lS7_PS6_l21rocsparse_index_base_b
	.p2align	8
	.type	_ZN9rocsparseL29gebsrmm_small_blockdim_kernelILi4ELi2ELi4ELi16E21rocsparse_complex_numIdEEEv20rocsparse_direction_20rocsparse_operation_iiNS_24const_host_device_scalarIT3_EEPKiS9_PKS6_iiSB_lS7_PS6_l21rocsparse_index_base_b,@function
_ZN9rocsparseL29gebsrmm_small_blockdim_kernelILi4ELi2ELi4ELi16E21rocsparse_complex_numIdEEEv20rocsparse_direction_20rocsparse_operation_iiNS_24const_host_device_scalarIT3_EEPKiS9_PKS6_iiSB_lS7_PS6_l21rocsparse_index_base_b: ; @_ZN9rocsparseL29gebsrmm_small_blockdim_kernelILi4ELi2ELi4ELi16E21rocsparse_complex_numIdEEEv20rocsparse_direction_20rocsparse_operation_iiNS_24const_host_device_scalarIT3_EEPKiS9_PKS6_iiSB_lS7_PS6_l21rocsparse_index_base_b
; %bb.0:
	s_clause 0x1
	s_load_b64 s[6:7], s[0:1], 0x70
	s_load_b64 s[2:3], s[0:1], 0x10
	v_mov_b32_e32 v1, 0
	s_add_nc_u64 s[4:5], s[0:1], 16
	s_load_b128 s[8:11], s[0:1], 0x48
	s_wait_kmcnt 0x0
	s_bitcmp1_b32 s7, 0
	s_cselect_b32 s3, s5, s3
	s_cselect_b32 s2, s4, s2
	flat_load_b128 v[6:9], v1, s[2:3]
	s_wait_xcnt 0x0
	s_add_nc_u64 s[2:3], s[0:1], 0x50
	s_delay_alu instid0(SALU_CYCLE_1)
	s_cselect_b32 s3, s3, s11
	s_cselect_b32 s2, s2, s10
	flat_load_b128 v[2:5], v1, s[2:3]
	s_wait_loadcnt_dscnt 0x101
	v_cmp_eq_f64_e32 vcc_lo, 0, v[6:7]
	s_wait_xcnt 0x0
	v_cmp_eq_f64_e64 s2, 0, v[8:9]
	s_and_b32 s4, vcc_lo, s2
	s_mov_b32 s2, -1
	s_and_saveexec_b32 s3, s4
	s_cbranch_execz .LBB46_2
; %bb.1:
	s_wait_loadcnt_dscnt 0x0
	v_cmp_neq_f64_e32 vcc_lo, 1.0, v[2:3]
	v_cmp_neq_f64_e64 s2, 0, v[4:5]
	s_or_b32 s2, vcc_lo, s2
	s_delay_alu instid0(SALU_CYCLE_1)
	s_or_not1_b32 s2, s2, exec_lo
.LBB46_2:
	s_or_b32 exec_lo, exec_lo, s3
	s_and_saveexec_b32 s3, s2
	s_cbranch_execz .LBB46_22
; %bb.3:
	s_load_b128 s[16:19], s[0:1], 0x0
	s_bfe_u32 s2, ttmp6, 0x4000c
	s_and_b32 s3, ttmp6, 15
	s_add_co_i32 s2, s2, 1
	s_mov_b32 s20, 0
	s_mul_i32 s4, ttmp9, s2
	s_getreg_b32 s2, hwreg(HW_REG_IB_STS2, 6, 4)
	s_add_co_i32 s3, s3, s4
	s_cmp_eq_u32 s2, 0
	s_mov_b32 s11, 0
	s_cselect_b32 s10, ttmp9, s3
	s_wait_kmcnt 0x0
	s_cmp_lt_i32 s10, s18
	s_cselect_b32 s7, -1, 0
	s_cmp_ge_i32 s10, s18
	s_cbranch_scc1 .LBB46_5
; %bb.4:
	s_load_b64 s[4:5], s[0:1], 0x20
	s_ashr_i32 s11, s10, 31
	s_delay_alu instid0(SALU_CYCLE_1)
	s_lshl_b64 s[12:13], s[10:11], 2
	s_wait_kmcnt 0x0
	s_add_nc_u64 s[4:5], s[4:5], s[12:13]
	s_load_b64 s[12:13], s[4:5], 0x0
	s_wait_kmcnt 0x0
	s_sub_co_i32 s20, s12, s6
	s_sub_co_i32 s11, s13, s6
.LBB46_5:
	s_bfe_u32 s3, ttmp6, 0x40010
	s_bfe_u32 s4, ttmp6, 0x40004
	s_add_co_i32 s3, s3, 1
	v_bfe_u32 v11, v0, 10, 10
	s_mul_i32 s3, ttmp7, s3
	v_and_b32_e32 v22, 0x3ff, v0
	s_add_co_i32 s4, s4, s3
	s_cmp_eq_u32 s2, 0
	v_mov_b64_e32 v[0:1], 0
	s_cselect_b32 s2, ttmp7, s4
	v_mov_b64_e32 v[16:17], 0
	v_lshl_add_u32 v14, s2, 4, v11
	v_cmp_gt_u32_e64 s3, 4, v22
	s_cmp_ge_i32 s20, s11
	v_ashrrev_i32_e32 v15, 31, v14
	v_cmp_gt_i32_e64 s2, s19, v14
	s_cbranch_scc1 .LBB46_17
; %bb.6:
	v_mul_u64_e32 v[12:13], s[8:9], v[14:15]
	s_clause 0x1
	s_load_b64 s[22:23], s[0:1], 0x40
	s_load_b128 s[12:15], s[0:1], 0x28
	v_cmp_lt_u32_e32 vcc_lo, 1, v22
	v_cmp_gt_u32_e64 s4, 2, v11
	s_xor_b32 s5, s2, -1
	v_lshl_add_u32 v18, v11, 2, v22
	v_dual_lshlrev_b32 v16, 4, v22 :: v_dual_mov_b32 v10, 0
	s_or_b32 s18, s5, vcc_lo
	s_and_b32 s19, s3, s4
	s_cmp_lg_u32 s17, 0x6f
	v_lshl_add_u32 v19, v22, 1, v11
	s_cselect_b32 s17, -1, 0
	s_cmp_eq_u32 s16, 0
	v_dual_lshlrev_b32 v23, 6, v11 :: v_dual_lshlrev_b32 v24, 4, v18
	v_mov_b32_e32 v17, v10
	s_cselect_b32 vcc_lo, -1, 0
	v_mov_b64_e32 v[0:1], 0
	v_cndmask_b32_e32 v11, v18, v19, vcc_lo
	v_add_nc_u32_e32 v25, 0x400, v16
	v_add_nc_u32_e32 v26, 0x400, v24
	s_ashr_i32 s21, s20, 31
	s_wait_kmcnt 0x0
	v_lshl_add_u64 v[18:19], v[14:15], 4, s[22:23]
	v_lshl_add_u32 v27, s20, 3, v11
	s_lshl_b64 s[4:5], s[20:21], 2
	s_delay_alu instid0(SALU_CYCLE_1) | instskip(SKIP_1) | instid1(VALU_DEP_1)
	s_add_nc_u64 s[4:5], s[12:13], s[4:5]
	v_lshl_add_u64 v[12:13], v[12:13], 4, s[22:23]
	v_add_nc_u64_e32 v[20:21], v[12:13], v[16:17]
	v_mov_b64_e32 v[16:17], 0
	s_branch .LBB46_8
.LBB46_7:                               ;   in Loop: Header=BB46_8 Depth=1
	s_or_b32 exec_lo, exec_lo, s12
	s_wait_loadcnt_dscnt 0x0
	s_barrier_signal -1
	s_barrier_wait -1
	ds_load_b128 v[28:31], v25
	ds_load_b128 v[32:35], v23
	ds_load_b128 v[36:39], v23 offset:16
	ds_load_b128 v[40:43], v25 offset:64
	v_add_nc_u32_e32 v27, 8, v27
	s_add_co_i32 s20, s20, 1
	s_add_nc_u64 s[4:5], s[4:5], 4
	s_cmp_ge_i32 s20, s11
	s_wait_dscnt 0x0
	s_barrier_signal -1
	s_barrier_wait -1
	v_fmac_f64_e32 v[16:17], v[28:29], v[32:33]
	v_fmac_f64_e32 v[0:1], v[30:31], v[32:33]
	s_delay_alu instid0(VALU_DEP_2) | instskip(NEXT) | instid1(VALU_DEP_2)
	v_fma_f64 v[12:13], -v[30:31], v[34:35], v[16:17]
	v_fmac_f64_e32 v[0:1], v[28:29], v[34:35]
	s_delay_alu instid0(VALU_DEP_2) | instskip(NEXT) | instid1(VALU_DEP_2)
	v_fmac_f64_e32 v[12:13], v[40:41], v[36:37]
	v_fmac_f64_e32 v[0:1], v[42:43], v[36:37]
	s_delay_alu instid0(VALU_DEP_2) | instskip(NEXT) | instid1(VALU_DEP_2)
	v_fma_f64 v[16:17], -v[42:43], v[38:39], v[12:13]
	v_fmac_f64_e32 v[0:1], v[40:41], v[38:39]
	s_cbranch_scc1 .LBB46_17
.LBB46_8:                               ; =>This Inner Loop Header: Depth=1
	s_and_saveexec_b32 s12, s18
	s_delay_alu instid0(SALU_CYCLE_1)
	s_xor_b32 s12, exec_lo, s12
; %bb.9:                                ;   in Loop: Header=BB46_8 Depth=1
	v_dual_mov_b32 v11, v10 :: v_dual_mov_b32 v12, v10
	v_mov_b32_e32 v13, v10
	ds_store_b128 v24, v[10:13]
; %bb.10:                               ;   in Loop: Header=BB46_8 Depth=1
	s_and_not1_saveexec_b32 s16, s12
	s_cbranch_execz .LBB46_15
; %bb.11:                               ;   in Loop: Header=BB46_8 Depth=1
	s_load_b32 s12, s[4:5], 0x0
	s_mov_b32 s13, -1
	s_and_b32 vcc_lo, exec_lo, s17
	s_wait_kmcnt 0x0
	s_sub_co_i32 s12, s12, s6
	s_delay_alu instid0(SALU_CYCLE_1)
	s_lshl_b32 s12, s12, 1
	s_cbranch_vccz .LBB46_13
; %bb.12:                               ;   in Loop: Header=BB46_8 Depth=1
	v_or_b32_e32 v12, s12, v22
	s_mov_b32 s13, 0
	s_delay_alu instid0(VALU_DEP_1) | instskip(NEXT) | instid1(VALU_DEP_1)
	v_ashrrev_i32_e32 v13, 31, v12
	v_mul_u64_e32 v[12:13], s[8:9], v[12:13]
	s_delay_alu instid0(VALU_DEP_1)
	v_lshl_add_u64 v[12:13], v[12:13], 4, v[18:19]
	global_load_b128 v[28:31], v[12:13], off
	s_wait_loadcnt 0x0
	ds_store_2addr_b64 v24, v[28:29], v[30:31] offset1:1
.LBB46_13:                              ;   in Loop: Header=BB46_8 Depth=1
	s_and_not1_b32 vcc_lo, exec_lo, s13
	s_cbranch_vccnz .LBB46_15
; %bb.14:                               ;   in Loop: Header=BB46_8 Depth=1
	s_ashr_i32 s13, s12, 31
	s_delay_alu instid0(SALU_CYCLE_1)
	v_lshl_add_u64 v[12:13], s[12:13], 4, v[20:21]
	global_load_b128 v[28:31], v[12:13], off
	s_wait_loadcnt 0x0
	ds_store_2addr_b64 v24, v[28:29], v[30:31] offset1:1
.LBB46_15:                              ;   in Loop: Header=BB46_8 Depth=1
	s_or_b32 exec_lo, exec_lo, s16
	s_and_saveexec_b32 s12, s19
	s_cbranch_execz .LBB46_7
; %bb.16:                               ;   in Loop: Header=BB46_8 Depth=1
	global_load_b128 v[28:31], v27, s[14:15] scale_offset
	s_wait_loadcnt 0x0
	ds_store_2addr_b64 v26, v[28:29], v[30:31] offset1:1
	s_branch .LBB46_7
.LBB46_17:
	s_load_b64 s[4:5], s[0:1], 0x60
	s_and_b32 s2, s7, s2
	s_delay_alu instid0(SALU_CYCLE_1) | instskip(NEXT) | instid1(SALU_CYCLE_1)
	s_and_b32 s2, s2, s3
	s_and_b32 exec_lo, exec_lo, s2
	s_cbranch_execz .LBB46_22
; %bb.18:
	s_delay_alu instid0(VALU_DEP_1)
	v_mul_f64_e64 v[10:11], v[0:1], -v[8:9]
	v_mul_f64_e32 v[12:13], v[6:7], v[0:1]
	s_wait_xcnt 0x0
	s_load_b64 s[0:1], s[0:1], 0x68
	s_wait_loadcnt_dscnt 0x0
	v_cmp_neq_f64_e32 vcc_lo, 0, v[2:3]
	v_lshl_add_u32 v0, s10, 2, v22
	s_delay_alu instid0(VALU_DEP_1)
	v_ashrrev_i32_e32 v1, 31, v0
	s_wait_kmcnt 0x0
	v_mul_u64_e32 v[14:15], s[0:1], v[14:15]
	v_cmp_neq_f64_e64 s0, 0, v[4:5]
	v_fmac_f64_e32 v[10:11], v[6:7], v[16:17]
	v_fmac_f64_e32 v[12:13], v[8:9], v[16:17]
	s_delay_alu instid0(VALU_DEP_4) | instskip(SKIP_1) | instid1(SALU_CYCLE_1)
	v_lshl_add_u64 v[6:7], v[14:15], 4, s[4:5]
	s_or_b32 s0, vcc_lo, s0
	s_and_saveexec_b32 s1, s0
	s_delay_alu instid0(SALU_CYCLE_1)
	s_xor_b32 s0, exec_lo, s1
	s_cbranch_execz .LBB46_20
; %bb.19:
	v_lshl_add_u64 v[0:1], v[0:1], 4, v[6:7]
	global_load_b128 v[6:9], v[0:1], off
	s_wait_loadcnt 0x0
	v_fmac_f64_e32 v[10:11], v[2:3], v[6:7]
	v_fmac_f64_e32 v[12:13], v[4:5], v[6:7]
                                        ; implicit-def: $vgpr6_vgpr7
	s_delay_alu instid0(VALU_DEP_2) | instskip(NEXT) | instid1(VALU_DEP_2)
	v_fma_f64 v[10:11], -v[4:5], v[8:9], v[10:11]
	v_fmac_f64_e32 v[12:13], v[2:3], v[8:9]
	global_store_b128 v[0:1], v[10:13], off
                                        ; implicit-def: $vgpr0
                                        ; implicit-def: $vgpr10_vgpr11
.LBB46_20:
	s_wait_xcnt 0x0
	s_and_not1_saveexec_b32 s0, s0
	s_cbranch_execz .LBB46_22
; %bb.21:
	v_lshl_add_u64 v[0:1], v[0:1], 4, v[6:7]
	global_store_b128 v[0:1], v[10:13], off
.LBB46_22:
	s_endpgm
	.section	.rodata,"a",@progbits
	.p2align	6, 0x0
	.amdhsa_kernel _ZN9rocsparseL29gebsrmm_small_blockdim_kernelILi4ELi2ELi4ELi16E21rocsparse_complex_numIdEEEv20rocsparse_direction_20rocsparse_operation_iiNS_24const_host_device_scalarIT3_EEPKiS9_PKS6_iiSB_lS7_PS6_l21rocsparse_index_base_b
		.amdhsa_group_segment_fixed_size 1280
		.amdhsa_private_segment_fixed_size 0
		.amdhsa_kernarg_size 120
		.amdhsa_user_sgpr_count 2
		.amdhsa_user_sgpr_dispatch_ptr 0
		.amdhsa_user_sgpr_queue_ptr 0
		.amdhsa_user_sgpr_kernarg_segment_ptr 1
		.amdhsa_user_sgpr_dispatch_id 0
		.amdhsa_user_sgpr_kernarg_preload_length 0
		.amdhsa_user_sgpr_kernarg_preload_offset 0
		.amdhsa_user_sgpr_private_segment_size 0
		.amdhsa_wavefront_size32 1
		.amdhsa_uses_dynamic_stack 0
		.amdhsa_enable_private_segment 0
		.amdhsa_system_sgpr_workgroup_id_x 1
		.amdhsa_system_sgpr_workgroup_id_y 1
		.amdhsa_system_sgpr_workgroup_id_z 0
		.amdhsa_system_sgpr_workgroup_info 0
		.amdhsa_system_vgpr_workitem_id 1
		.amdhsa_next_free_vgpr 44
		.amdhsa_next_free_sgpr 24
		.amdhsa_named_barrier_count 0
		.amdhsa_reserve_vcc 1
		.amdhsa_float_round_mode_32 0
		.amdhsa_float_round_mode_16_64 0
		.amdhsa_float_denorm_mode_32 3
		.amdhsa_float_denorm_mode_16_64 3
		.amdhsa_fp16_overflow 0
		.amdhsa_memory_ordered 1
		.amdhsa_forward_progress 1
		.amdhsa_inst_pref_size 10
		.amdhsa_round_robin_scheduling 0
		.amdhsa_exception_fp_ieee_invalid_op 0
		.amdhsa_exception_fp_denorm_src 0
		.amdhsa_exception_fp_ieee_div_zero 0
		.amdhsa_exception_fp_ieee_overflow 0
		.amdhsa_exception_fp_ieee_underflow 0
		.amdhsa_exception_fp_ieee_inexact 0
		.amdhsa_exception_int_div_zero 0
	.end_amdhsa_kernel
	.section	.text._ZN9rocsparseL29gebsrmm_small_blockdim_kernelILi4ELi2ELi4ELi16E21rocsparse_complex_numIdEEEv20rocsparse_direction_20rocsparse_operation_iiNS_24const_host_device_scalarIT3_EEPKiS9_PKS6_iiSB_lS7_PS6_l21rocsparse_index_base_b,"axG",@progbits,_ZN9rocsparseL29gebsrmm_small_blockdim_kernelILi4ELi2ELi4ELi16E21rocsparse_complex_numIdEEEv20rocsparse_direction_20rocsparse_operation_iiNS_24const_host_device_scalarIT3_EEPKiS9_PKS6_iiSB_lS7_PS6_l21rocsparse_index_base_b,comdat
.Lfunc_end46:
	.size	_ZN9rocsparseL29gebsrmm_small_blockdim_kernelILi4ELi2ELi4ELi16E21rocsparse_complex_numIdEEEv20rocsparse_direction_20rocsparse_operation_iiNS_24const_host_device_scalarIT3_EEPKiS9_PKS6_iiSB_lS7_PS6_l21rocsparse_index_base_b, .Lfunc_end46-_ZN9rocsparseL29gebsrmm_small_blockdim_kernelILi4ELi2ELi4ELi16E21rocsparse_complex_numIdEEEv20rocsparse_direction_20rocsparse_operation_iiNS_24const_host_device_scalarIT3_EEPKiS9_PKS6_iiSB_lS7_PS6_l21rocsparse_index_base_b
                                        ; -- End function
	.set _ZN9rocsparseL29gebsrmm_small_blockdim_kernelILi4ELi2ELi4ELi16E21rocsparse_complex_numIdEEEv20rocsparse_direction_20rocsparse_operation_iiNS_24const_host_device_scalarIT3_EEPKiS9_PKS6_iiSB_lS7_PS6_l21rocsparse_index_base_b.num_vgpr, 44
	.set _ZN9rocsparseL29gebsrmm_small_blockdim_kernelILi4ELi2ELi4ELi16E21rocsparse_complex_numIdEEEv20rocsparse_direction_20rocsparse_operation_iiNS_24const_host_device_scalarIT3_EEPKiS9_PKS6_iiSB_lS7_PS6_l21rocsparse_index_base_b.num_agpr, 0
	.set _ZN9rocsparseL29gebsrmm_small_blockdim_kernelILi4ELi2ELi4ELi16E21rocsparse_complex_numIdEEEv20rocsparse_direction_20rocsparse_operation_iiNS_24const_host_device_scalarIT3_EEPKiS9_PKS6_iiSB_lS7_PS6_l21rocsparse_index_base_b.numbered_sgpr, 24
	.set _ZN9rocsparseL29gebsrmm_small_blockdim_kernelILi4ELi2ELi4ELi16E21rocsparse_complex_numIdEEEv20rocsparse_direction_20rocsparse_operation_iiNS_24const_host_device_scalarIT3_EEPKiS9_PKS6_iiSB_lS7_PS6_l21rocsparse_index_base_b.num_named_barrier, 0
	.set _ZN9rocsparseL29gebsrmm_small_blockdim_kernelILi4ELi2ELi4ELi16E21rocsparse_complex_numIdEEEv20rocsparse_direction_20rocsparse_operation_iiNS_24const_host_device_scalarIT3_EEPKiS9_PKS6_iiSB_lS7_PS6_l21rocsparse_index_base_b.private_seg_size, 0
	.set _ZN9rocsparseL29gebsrmm_small_blockdim_kernelILi4ELi2ELi4ELi16E21rocsparse_complex_numIdEEEv20rocsparse_direction_20rocsparse_operation_iiNS_24const_host_device_scalarIT3_EEPKiS9_PKS6_iiSB_lS7_PS6_l21rocsparse_index_base_b.uses_vcc, 1
	.set _ZN9rocsparseL29gebsrmm_small_blockdim_kernelILi4ELi2ELi4ELi16E21rocsparse_complex_numIdEEEv20rocsparse_direction_20rocsparse_operation_iiNS_24const_host_device_scalarIT3_EEPKiS9_PKS6_iiSB_lS7_PS6_l21rocsparse_index_base_b.uses_flat_scratch, 0
	.set _ZN9rocsparseL29gebsrmm_small_blockdim_kernelILi4ELi2ELi4ELi16E21rocsparse_complex_numIdEEEv20rocsparse_direction_20rocsparse_operation_iiNS_24const_host_device_scalarIT3_EEPKiS9_PKS6_iiSB_lS7_PS6_l21rocsparse_index_base_b.has_dyn_sized_stack, 0
	.set _ZN9rocsparseL29gebsrmm_small_blockdim_kernelILi4ELi2ELi4ELi16E21rocsparse_complex_numIdEEEv20rocsparse_direction_20rocsparse_operation_iiNS_24const_host_device_scalarIT3_EEPKiS9_PKS6_iiSB_lS7_PS6_l21rocsparse_index_base_b.has_recursion, 0
	.set _ZN9rocsparseL29gebsrmm_small_blockdim_kernelILi4ELi2ELi4ELi16E21rocsparse_complex_numIdEEEv20rocsparse_direction_20rocsparse_operation_iiNS_24const_host_device_scalarIT3_EEPKiS9_PKS6_iiSB_lS7_PS6_l21rocsparse_index_base_b.has_indirect_call, 0
	.section	.AMDGPU.csdata,"",@progbits
; Kernel info:
; codeLenInByte = 1168
; TotalNumSgprs: 26
; NumVgprs: 44
; ScratchSize: 0
; MemoryBound: 0
; FloatMode: 240
; IeeeMode: 1
; LDSByteSize: 1280 bytes/workgroup (compile time only)
; SGPRBlocks: 0
; VGPRBlocks: 2
; NumSGPRsForWavesPerEU: 26
; NumVGPRsForWavesPerEU: 44
; NamedBarCnt: 0
; Occupancy: 16
; WaveLimiterHint : 0
; COMPUTE_PGM_RSRC2:SCRATCH_EN: 0
; COMPUTE_PGM_RSRC2:USER_SGPR: 2
; COMPUTE_PGM_RSRC2:TRAP_HANDLER: 0
; COMPUTE_PGM_RSRC2:TGID_X_EN: 1
; COMPUTE_PGM_RSRC2:TGID_Y_EN: 1
; COMPUTE_PGM_RSRC2:TGID_Z_EN: 0
; COMPUTE_PGM_RSRC2:TIDIG_COMP_CNT: 1
	.section	.text._ZN9rocsparseL29gebsrmm_small_blockdim_kernelILi4ELi3ELi4ELi16E21rocsparse_complex_numIdEEEv20rocsparse_direction_20rocsparse_operation_iiNS_24const_host_device_scalarIT3_EEPKiS9_PKS6_iiSB_lS7_PS6_l21rocsparse_index_base_b,"axG",@progbits,_ZN9rocsparseL29gebsrmm_small_blockdim_kernelILi4ELi3ELi4ELi16E21rocsparse_complex_numIdEEEv20rocsparse_direction_20rocsparse_operation_iiNS_24const_host_device_scalarIT3_EEPKiS9_PKS6_iiSB_lS7_PS6_l21rocsparse_index_base_b,comdat
	.globl	_ZN9rocsparseL29gebsrmm_small_blockdim_kernelILi4ELi3ELi4ELi16E21rocsparse_complex_numIdEEEv20rocsparse_direction_20rocsparse_operation_iiNS_24const_host_device_scalarIT3_EEPKiS9_PKS6_iiSB_lS7_PS6_l21rocsparse_index_base_b ; -- Begin function _ZN9rocsparseL29gebsrmm_small_blockdim_kernelILi4ELi3ELi4ELi16E21rocsparse_complex_numIdEEEv20rocsparse_direction_20rocsparse_operation_iiNS_24const_host_device_scalarIT3_EEPKiS9_PKS6_iiSB_lS7_PS6_l21rocsparse_index_base_b
	.p2align	8
	.type	_ZN9rocsparseL29gebsrmm_small_blockdim_kernelILi4ELi3ELi4ELi16E21rocsparse_complex_numIdEEEv20rocsparse_direction_20rocsparse_operation_iiNS_24const_host_device_scalarIT3_EEPKiS9_PKS6_iiSB_lS7_PS6_l21rocsparse_index_base_b,@function
_ZN9rocsparseL29gebsrmm_small_blockdim_kernelILi4ELi3ELi4ELi16E21rocsparse_complex_numIdEEEv20rocsparse_direction_20rocsparse_operation_iiNS_24const_host_device_scalarIT3_EEPKiS9_PKS6_iiSB_lS7_PS6_l21rocsparse_index_base_b: ; @_ZN9rocsparseL29gebsrmm_small_blockdim_kernelILi4ELi3ELi4ELi16E21rocsparse_complex_numIdEEEv20rocsparse_direction_20rocsparse_operation_iiNS_24const_host_device_scalarIT3_EEPKiS9_PKS6_iiSB_lS7_PS6_l21rocsparse_index_base_b
; %bb.0:
	s_clause 0x1
	s_load_b64 s[6:7], s[0:1], 0x70
	s_load_b64 s[2:3], s[0:1], 0x10
	v_mov_b32_e32 v1, 0
	s_add_nc_u64 s[4:5], s[0:1], 16
	s_load_b128 s[8:11], s[0:1], 0x48
	s_wait_kmcnt 0x0
	s_bitcmp1_b32 s7, 0
	s_cselect_b32 s3, s5, s3
	s_cselect_b32 s2, s4, s2
	flat_load_b128 v[6:9], v1, s[2:3]
	s_wait_xcnt 0x0
	s_add_nc_u64 s[2:3], s[0:1], 0x50
	s_delay_alu instid0(SALU_CYCLE_1)
	s_cselect_b32 s3, s3, s11
	s_cselect_b32 s2, s2, s10
	flat_load_b128 v[2:5], v1, s[2:3]
	s_wait_loadcnt_dscnt 0x101
	v_cmp_eq_f64_e32 vcc_lo, 0, v[6:7]
	s_wait_xcnt 0x0
	v_cmp_eq_f64_e64 s2, 0, v[8:9]
	s_and_b32 s4, vcc_lo, s2
	s_mov_b32 s2, -1
	s_and_saveexec_b32 s3, s4
	s_cbranch_execz .LBB47_2
; %bb.1:
	s_wait_loadcnt_dscnt 0x0
	v_cmp_neq_f64_e32 vcc_lo, 1.0, v[2:3]
	v_cmp_neq_f64_e64 s2, 0, v[4:5]
	s_or_b32 s2, vcc_lo, s2
	s_delay_alu instid0(SALU_CYCLE_1)
	s_or_not1_b32 s2, s2, exec_lo
.LBB47_2:
	s_or_b32 exec_lo, exec_lo, s3
	s_and_saveexec_b32 s3, s2
	s_cbranch_execz .LBB47_22
; %bb.3:
	s_load_b128 s[16:19], s[0:1], 0x0
	s_bfe_u32 s2, ttmp6, 0x4000c
	s_and_b32 s3, ttmp6, 15
	s_add_co_i32 s2, s2, 1
	s_mov_b32 s20, 0
	s_mul_i32 s4, ttmp9, s2
	s_getreg_b32 s2, hwreg(HW_REG_IB_STS2, 6, 4)
	s_add_co_i32 s3, s3, s4
	s_cmp_eq_u32 s2, 0
	s_mov_b32 s11, 0
	s_cselect_b32 s10, ttmp9, s3
	s_wait_kmcnt 0x0
	s_cmp_lt_i32 s10, s18
	s_cselect_b32 s7, -1, 0
	s_cmp_ge_i32 s10, s18
	s_cbranch_scc1 .LBB47_5
; %bb.4:
	s_load_b64 s[4:5], s[0:1], 0x20
	s_ashr_i32 s11, s10, 31
	s_delay_alu instid0(SALU_CYCLE_1)
	s_lshl_b64 s[12:13], s[10:11], 2
	s_wait_kmcnt 0x0
	s_add_nc_u64 s[4:5], s[4:5], s[12:13]
	s_load_b64 s[12:13], s[4:5], 0x0
	s_wait_kmcnt 0x0
	s_sub_co_i32 s20, s12, s6
	s_sub_co_i32 s11, s13, s6
.LBB47_5:
	s_bfe_u32 s3, ttmp6, 0x40010
	s_bfe_u32 s4, ttmp6, 0x40004
	s_add_co_i32 s3, s3, 1
	v_bfe_u32 v11, v0, 10, 10
	s_mul_i32 s3, ttmp7, s3
	v_and_b32_e32 v22, 0x3ff, v0
	s_add_co_i32 s4, s4, s3
	s_cmp_eq_u32 s2, 0
	v_mov_b64_e32 v[0:1], 0
	s_cselect_b32 s2, ttmp7, s4
	v_mov_b64_e32 v[16:17], 0
	v_lshl_add_u32 v14, s2, 4, v11
	v_cmp_gt_u32_e64 s3, 4, v22
	s_cmp_ge_i32 s20, s11
	v_ashrrev_i32_e32 v15, 31, v14
	v_cmp_gt_i32_e64 s2, s19, v14
	s_cbranch_scc1 .LBB47_17
; %bb.6:
	v_mul_u64_e32 v[12:13], s[8:9], v[14:15]
	s_clause 0x1
	s_load_b64 s[22:23], s[0:1], 0x40
	s_load_b128 s[12:15], s[0:1], 0x28
	v_cmp_lt_u32_e32 vcc_lo, 2, v22
	v_cmp_gt_u32_e64 s4, 3, v11
	s_xor_b32 s5, s2, -1
	v_lshl_add_u32 v17, v11, 2, v22
	v_mad_u32_u24 v18, v22, 3, v11
	s_or_b32 s18, s5, vcc_lo
	s_and_b32 s19, s3, s4
	s_cmp_lg_u32 s17, 0x6f
	v_dual_lshlrev_b32 v16, 4, v22 :: v_dual_mov_b32 v10, 0
	s_cselect_b32 s17, -1, 0
	s_cmp_eq_u32 s16, 0
	v_lshlrev_b32_e32 v23, 4, v17
	s_cselect_b32 vcc_lo, -1, 0
	v_mov_b64_e32 v[0:1], 0
	v_dual_cndmask_b32 v18, v17, v18 :: v_dual_mov_b32 v17, v10
	v_add_nc_u32_e32 v24, 0x400, v16
	s_ashr_i32 s21, s20, 31
	v_add_nc_u32_e32 v26, 0x400, v23
	s_delay_alu instid0(VALU_DEP_3) | instskip(SKIP_4) | instid1(SALU_CYCLE_1)
	v_mad_u32 v25, s20, 12, v18
	s_wait_kmcnt 0x0
	v_lshl_add_u64 v[18:19], v[14:15], 4, s[22:23]
	v_lshlrev_b32_e32 v27, 6, v11
	s_lshl_b64 s[4:5], s[20:21], 2
	s_add_nc_u64 s[4:5], s[12:13], s[4:5]
	v_lshl_add_u64 v[12:13], v[12:13], 4, s[22:23]
	s_delay_alu instid0(VALU_DEP_1)
	v_add_nc_u64_e32 v[20:21], v[12:13], v[16:17]
	v_mov_b64_e32 v[16:17], 0
	s_branch .LBB47_8
.LBB47_7:                               ;   in Loop: Header=BB47_8 Depth=1
	s_or_b32 exec_lo, exec_lo, s12
	s_wait_loadcnt_dscnt 0x0
	s_barrier_signal -1
	s_barrier_wait -1
	ds_load_b128 v[28:31], v27
	ds_load_b128 v[32:35], v24
	ds_load_b128 v[36:39], v24 offset:64
	ds_load_b128 v[40:43], v24 offset:128
	s_add_co_i32 s20, s20, 1
	s_add_nc_u64 s[4:5], s[4:5], 4
	s_cmp_ge_i32 s20, s11
	v_add_nc_u32_e32 v25, 12, v25
	s_wait_dscnt 0x2
	v_fmac_f64_e32 v[16:17], v[32:33], v[28:29]
	v_fmac_f64_e32 v[0:1], v[34:35], v[28:29]
	s_delay_alu instid0(VALU_DEP_2) | instskip(NEXT) | instid1(VALU_DEP_2)
	v_fma_f64 v[12:13], -v[34:35], v[30:31], v[16:17]
	v_fmac_f64_e32 v[0:1], v[32:33], v[30:31]
	ds_load_b128 v[28:31], v27 offset:16
	ds_load_b128 v[32:35], v27 offset:32
	s_wait_dscnt 0x0
	s_barrier_signal -1
	s_barrier_wait -1
	v_fmac_f64_e32 v[12:13], v[36:37], v[28:29]
	v_fmac_f64_e32 v[0:1], v[38:39], v[28:29]
	s_delay_alu instid0(VALU_DEP_2) | instskip(NEXT) | instid1(VALU_DEP_2)
	v_fma_f64 v[12:13], -v[38:39], v[30:31], v[12:13]
	v_fmac_f64_e32 v[0:1], v[36:37], v[30:31]
	s_delay_alu instid0(VALU_DEP_2) | instskip(NEXT) | instid1(VALU_DEP_2)
	v_fmac_f64_e32 v[12:13], v[40:41], v[32:33]
	v_fmac_f64_e32 v[0:1], v[42:43], v[32:33]
	s_delay_alu instid0(VALU_DEP_2) | instskip(NEXT) | instid1(VALU_DEP_2)
	v_fma_f64 v[16:17], -v[42:43], v[34:35], v[12:13]
	v_fmac_f64_e32 v[0:1], v[40:41], v[34:35]
	s_cbranch_scc1 .LBB47_17
.LBB47_8:                               ; =>This Inner Loop Header: Depth=1
	s_and_saveexec_b32 s12, s18
	s_delay_alu instid0(SALU_CYCLE_1)
	s_xor_b32 s12, exec_lo, s12
; %bb.9:                                ;   in Loop: Header=BB47_8 Depth=1
	v_dual_mov_b32 v11, v10 :: v_dual_mov_b32 v12, v10
	v_mov_b32_e32 v13, v10
	ds_store_b128 v23, v[10:13]
; %bb.10:                               ;   in Loop: Header=BB47_8 Depth=1
	s_and_not1_saveexec_b32 s16, s12
	s_cbranch_execz .LBB47_15
; %bb.11:                               ;   in Loop: Header=BB47_8 Depth=1
	s_load_b32 s12, s[4:5], 0x0
	s_mov_b32 s13, -1
	s_and_b32 vcc_lo, exec_lo, s17
	s_wait_kmcnt 0x0
	s_sub_co_i32 s12, s12, s6
	s_delay_alu instid0(SALU_CYCLE_1)
	s_mul_i32 s12, s12, 3
	s_cbranch_vccz .LBB47_13
; %bb.12:                               ;   in Loop: Header=BB47_8 Depth=1
	v_add_nc_u32_e32 v12, s12, v22
	s_mov_b32 s13, 0
	s_delay_alu instid0(VALU_DEP_1) | instskip(NEXT) | instid1(VALU_DEP_1)
	v_ashrrev_i32_e32 v13, 31, v12
	v_mul_u64_e32 v[12:13], s[8:9], v[12:13]
	s_delay_alu instid0(VALU_DEP_1)
	v_lshl_add_u64 v[12:13], v[12:13], 4, v[18:19]
	global_load_b128 v[28:31], v[12:13], off
	s_wait_loadcnt 0x0
	ds_store_2addr_b64 v23, v[28:29], v[30:31] offset1:1
.LBB47_13:                              ;   in Loop: Header=BB47_8 Depth=1
	s_and_not1_b32 vcc_lo, exec_lo, s13
	s_cbranch_vccnz .LBB47_15
; %bb.14:                               ;   in Loop: Header=BB47_8 Depth=1
	s_ashr_i32 s13, s12, 31
	s_delay_alu instid0(SALU_CYCLE_1)
	v_lshl_add_u64 v[12:13], s[12:13], 4, v[20:21]
	global_load_b128 v[28:31], v[12:13], off
	s_wait_loadcnt 0x0
	ds_store_2addr_b64 v23, v[28:29], v[30:31] offset1:1
.LBB47_15:                              ;   in Loop: Header=BB47_8 Depth=1
	s_or_b32 exec_lo, exec_lo, s16
	s_and_saveexec_b32 s12, s19
	s_cbranch_execz .LBB47_7
; %bb.16:                               ;   in Loop: Header=BB47_8 Depth=1
	global_load_b128 v[28:31], v25, s[14:15] scale_offset
	s_wait_loadcnt 0x0
	ds_store_2addr_b64 v26, v[28:29], v[30:31] offset1:1
	s_branch .LBB47_7
.LBB47_17:
	s_load_b64 s[4:5], s[0:1], 0x60
	s_and_b32 s2, s7, s2
	s_delay_alu instid0(SALU_CYCLE_1) | instskip(NEXT) | instid1(SALU_CYCLE_1)
	s_and_b32 s2, s2, s3
	s_and_b32 exec_lo, exec_lo, s2
	s_cbranch_execz .LBB47_22
; %bb.18:
	s_delay_alu instid0(VALU_DEP_1)
	v_mul_f64_e64 v[10:11], v[0:1], -v[8:9]
	v_mul_f64_e32 v[12:13], v[6:7], v[0:1]
	s_wait_xcnt 0x0
	s_load_b64 s[0:1], s[0:1], 0x68
	s_wait_loadcnt_dscnt 0x0
	v_cmp_neq_f64_e32 vcc_lo, 0, v[2:3]
	v_lshl_add_u32 v0, s10, 2, v22
	s_delay_alu instid0(VALU_DEP_1)
	v_ashrrev_i32_e32 v1, 31, v0
	s_wait_kmcnt 0x0
	v_mul_u64_e32 v[14:15], s[0:1], v[14:15]
	v_cmp_neq_f64_e64 s0, 0, v[4:5]
	v_fmac_f64_e32 v[10:11], v[6:7], v[16:17]
	v_fmac_f64_e32 v[12:13], v[8:9], v[16:17]
	s_delay_alu instid0(VALU_DEP_4) | instskip(SKIP_1) | instid1(SALU_CYCLE_1)
	v_lshl_add_u64 v[6:7], v[14:15], 4, s[4:5]
	s_or_b32 s0, vcc_lo, s0
	s_and_saveexec_b32 s1, s0
	s_delay_alu instid0(SALU_CYCLE_1)
	s_xor_b32 s0, exec_lo, s1
	s_cbranch_execz .LBB47_20
; %bb.19:
	v_lshl_add_u64 v[0:1], v[0:1], 4, v[6:7]
	global_load_b128 v[6:9], v[0:1], off
	s_wait_loadcnt 0x0
	v_fmac_f64_e32 v[10:11], v[2:3], v[6:7]
	v_fmac_f64_e32 v[12:13], v[4:5], v[6:7]
                                        ; implicit-def: $vgpr6_vgpr7
	s_delay_alu instid0(VALU_DEP_2) | instskip(NEXT) | instid1(VALU_DEP_2)
	v_fma_f64 v[10:11], -v[4:5], v[8:9], v[10:11]
	v_fmac_f64_e32 v[12:13], v[2:3], v[8:9]
	global_store_b128 v[0:1], v[10:13], off
                                        ; implicit-def: $vgpr0
                                        ; implicit-def: $vgpr10_vgpr11
.LBB47_20:
	s_wait_xcnt 0x0
	s_and_not1_saveexec_b32 s0, s0
	s_cbranch_execz .LBB47_22
; %bb.21:
	v_lshl_add_u64 v[0:1], v[0:1], 4, v[6:7]
	global_store_b128 v[0:1], v[10:13], off
.LBB47_22:
	s_endpgm
	.section	.rodata,"a",@progbits
	.p2align	6, 0x0
	.amdhsa_kernel _ZN9rocsparseL29gebsrmm_small_blockdim_kernelILi4ELi3ELi4ELi16E21rocsparse_complex_numIdEEEv20rocsparse_direction_20rocsparse_operation_iiNS_24const_host_device_scalarIT3_EEPKiS9_PKS6_iiSB_lS7_PS6_l21rocsparse_index_base_b
		.amdhsa_group_segment_fixed_size 1280
		.amdhsa_private_segment_fixed_size 0
		.amdhsa_kernarg_size 120
		.amdhsa_user_sgpr_count 2
		.amdhsa_user_sgpr_dispatch_ptr 0
		.amdhsa_user_sgpr_queue_ptr 0
		.amdhsa_user_sgpr_kernarg_segment_ptr 1
		.amdhsa_user_sgpr_dispatch_id 0
		.amdhsa_user_sgpr_kernarg_preload_length 0
		.amdhsa_user_sgpr_kernarg_preload_offset 0
		.amdhsa_user_sgpr_private_segment_size 0
		.amdhsa_wavefront_size32 1
		.amdhsa_uses_dynamic_stack 0
		.amdhsa_enable_private_segment 0
		.amdhsa_system_sgpr_workgroup_id_x 1
		.amdhsa_system_sgpr_workgroup_id_y 1
		.amdhsa_system_sgpr_workgroup_id_z 0
		.amdhsa_system_sgpr_workgroup_info 0
		.amdhsa_system_vgpr_workitem_id 1
		.amdhsa_next_free_vgpr 44
		.amdhsa_next_free_sgpr 24
		.amdhsa_named_barrier_count 0
		.amdhsa_reserve_vcc 1
		.amdhsa_float_round_mode_32 0
		.amdhsa_float_round_mode_16_64 0
		.amdhsa_float_denorm_mode_32 3
		.amdhsa_float_denorm_mode_16_64 3
		.amdhsa_fp16_overflow 0
		.amdhsa_memory_ordered 1
		.amdhsa_forward_progress 1
		.amdhsa_inst_pref_size 10
		.amdhsa_round_robin_scheduling 0
		.amdhsa_exception_fp_ieee_invalid_op 0
		.amdhsa_exception_fp_denorm_src 0
		.amdhsa_exception_fp_ieee_div_zero 0
		.amdhsa_exception_fp_ieee_overflow 0
		.amdhsa_exception_fp_ieee_underflow 0
		.amdhsa_exception_fp_ieee_inexact 0
		.amdhsa_exception_int_div_zero 0
	.end_amdhsa_kernel
	.section	.text._ZN9rocsparseL29gebsrmm_small_blockdim_kernelILi4ELi3ELi4ELi16E21rocsparse_complex_numIdEEEv20rocsparse_direction_20rocsparse_operation_iiNS_24const_host_device_scalarIT3_EEPKiS9_PKS6_iiSB_lS7_PS6_l21rocsparse_index_base_b,"axG",@progbits,_ZN9rocsparseL29gebsrmm_small_blockdim_kernelILi4ELi3ELi4ELi16E21rocsparse_complex_numIdEEEv20rocsparse_direction_20rocsparse_operation_iiNS_24const_host_device_scalarIT3_EEPKiS9_PKS6_iiSB_lS7_PS6_l21rocsparse_index_base_b,comdat
.Lfunc_end47:
	.size	_ZN9rocsparseL29gebsrmm_small_blockdim_kernelILi4ELi3ELi4ELi16E21rocsparse_complex_numIdEEEv20rocsparse_direction_20rocsparse_operation_iiNS_24const_host_device_scalarIT3_EEPKiS9_PKS6_iiSB_lS7_PS6_l21rocsparse_index_base_b, .Lfunc_end47-_ZN9rocsparseL29gebsrmm_small_blockdim_kernelILi4ELi3ELi4ELi16E21rocsparse_complex_numIdEEEv20rocsparse_direction_20rocsparse_operation_iiNS_24const_host_device_scalarIT3_EEPKiS9_PKS6_iiSB_lS7_PS6_l21rocsparse_index_base_b
                                        ; -- End function
	.set _ZN9rocsparseL29gebsrmm_small_blockdim_kernelILi4ELi3ELi4ELi16E21rocsparse_complex_numIdEEEv20rocsparse_direction_20rocsparse_operation_iiNS_24const_host_device_scalarIT3_EEPKiS9_PKS6_iiSB_lS7_PS6_l21rocsparse_index_base_b.num_vgpr, 44
	.set _ZN9rocsparseL29gebsrmm_small_blockdim_kernelILi4ELi3ELi4ELi16E21rocsparse_complex_numIdEEEv20rocsparse_direction_20rocsparse_operation_iiNS_24const_host_device_scalarIT3_EEPKiS9_PKS6_iiSB_lS7_PS6_l21rocsparse_index_base_b.num_agpr, 0
	.set _ZN9rocsparseL29gebsrmm_small_blockdim_kernelILi4ELi3ELi4ELi16E21rocsparse_complex_numIdEEEv20rocsparse_direction_20rocsparse_operation_iiNS_24const_host_device_scalarIT3_EEPKiS9_PKS6_iiSB_lS7_PS6_l21rocsparse_index_base_b.numbered_sgpr, 24
	.set _ZN9rocsparseL29gebsrmm_small_blockdim_kernelILi4ELi3ELi4ELi16E21rocsparse_complex_numIdEEEv20rocsparse_direction_20rocsparse_operation_iiNS_24const_host_device_scalarIT3_EEPKiS9_PKS6_iiSB_lS7_PS6_l21rocsparse_index_base_b.num_named_barrier, 0
	.set _ZN9rocsparseL29gebsrmm_small_blockdim_kernelILi4ELi3ELi4ELi16E21rocsparse_complex_numIdEEEv20rocsparse_direction_20rocsparse_operation_iiNS_24const_host_device_scalarIT3_EEPKiS9_PKS6_iiSB_lS7_PS6_l21rocsparse_index_base_b.private_seg_size, 0
	.set _ZN9rocsparseL29gebsrmm_small_blockdim_kernelILi4ELi3ELi4ELi16E21rocsparse_complex_numIdEEEv20rocsparse_direction_20rocsparse_operation_iiNS_24const_host_device_scalarIT3_EEPKiS9_PKS6_iiSB_lS7_PS6_l21rocsparse_index_base_b.uses_vcc, 1
	.set _ZN9rocsparseL29gebsrmm_small_blockdim_kernelILi4ELi3ELi4ELi16E21rocsparse_complex_numIdEEEv20rocsparse_direction_20rocsparse_operation_iiNS_24const_host_device_scalarIT3_EEPKiS9_PKS6_iiSB_lS7_PS6_l21rocsparse_index_base_b.uses_flat_scratch, 0
	.set _ZN9rocsparseL29gebsrmm_small_blockdim_kernelILi4ELi3ELi4ELi16E21rocsparse_complex_numIdEEEv20rocsparse_direction_20rocsparse_operation_iiNS_24const_host_device_scalarIT3_EEPKiS9_PKS6_iiSB_lS7_PS6_l21rocsparse_index_base_b.has_dyn_sized_stack, 0
	.set _ZN9rocsparseL29gebsrmm_small_blockdim_kernelILi4ELi3ELi4ELi16E21rocsparse_complex_numIdEEEv20rocsparse_direction_20rocsparse_operation_iiNS_24const_host_device_scalarIT3_EEPKiS9_PKS6_iiSB_lS7_PS6_l21rocsparse_index_base_b.has_recursion, 0
	.set _ZN9rocsparseL29gebsrmm_small_blockdim_kernelILi4ELi3ELi4ELi16E21rocsparse_complex_numIdEEEv20rocsparse_direction_20rocsparse_operation_iiNS_24const_host_device_scalarIT3_EEPKiS9_PKS6_iiSB_lS7_PS6_l21rocsparse_index_base_b.has_indirect_call, 0
	.section	.AMDGPU.csdata,"",@progbits
; Kernel info:
; codeLenInByte = 1212
; TotalNumSgprs: 26
; NumVgprs: 44
; ScratchSize: 0
; MemoryBound: 0
; FloatMode: 240
; IeeeMode: 1
; LDSByteSize: 1280 bytes/workgroup (compile time only)
; SGPRBlocks: 0
; VGPRBlocks: 2
; NumSGPRsForWavesPerEU: 26
; NumVGPRsForWavesPerEU: 44
; NamedBarCnt: 0
; Occupancy: 16
; WaveLimiterHint : 0
; COMPUTE_PGM_RSRC2:SCRATCH_EN: 0
; COMPUTE_PGM_RSRC2:USER_SGPR: 2
; COMPUTE_PGM_RSRC2:TRAP_HANDLER: 0
; COMPUTE_PGM_RSRC2:TGID_X_EN: 1
; COMPUTE_PGM_RSRC2:TGID_Y_EN: 1
; COMPUTE_PGM_RSRC2:TGID_Z_EN: 0
; COMPUTE_PGM_RSRC2:TIDIG_COMP_CNT: 1
	.section	.AMDGPU.gpr_maximums,"",@progbits
	.set amdgpu.max_num_vgpr, 0
	.set amdgpu.max_num_agpr, 0
	.set amdgpu.max_num_sgpr, 0
	.section	.AMDGPU.csdata,"",@progbits
	.type	__hip_cuid_1294f0a1f601687e,@object ; @__hip_cuid_1294f0a1f601687e
	.section	.bss,"aw",@nobits
	.globl	__hip_cuid_1294f0a1f601687e
__hip_cuid_1294f0a1f601687e:
	.byte	0                               ; 0x0
	.size	__hip_cuid_1294f0a1f601687e, 1

	.ident	"AMD clang version 22.0.0git (https://github.com/RadeonOpenCompute/llvm-project roc-7.2.4 26084 f58b06dce1f9c15707c5f808fd002e18c2accf7e)"
	.section	".note.GNU-stack","",@progbits
	.addrsig
	.addrsig_sym __hip_cuid_1294f0a1f601687e
	.amdgpu_metadata
---
amdhsa.kernels:
  - .args:
      - .offset:         0
        .size:           4
        .value_kind:     by_value
      - .offset:         4
        .size:           4
        .value_kind:     by_value
      - .offset:         8
        .size:           4
        .value_kind:     by_value
      - .offset:         12
        .size:           4
        .value_kind:     by_value
      - .offset:         16
        .size:           8
        .value_kind:     by_value
      - .actual_access:  read_only
        .address_space:  global
        .offset:         24
        .size:           8
        .value_kind:     global_buffer
      - .actual_access:  read_only
        .address_space:  global
        .offset:         32
        .size:           8
        .value_kind:     global_buffer
      - .actual_access:  read_only
        .address_space:  global
        .offset:         40
        .size:           8
        .value_kind:     global_buffer
      - .offset:         48
        .size:           4
        .value_kind:     by_value
      - .offset:         52
        .size:           4
        .value_kind:     by_value
      - .actual_access:  read_only
        .address_space:  global
        .offset:         56
        .size:           8
        .value_kind:     global_buffer
      - .offset:         64
        .size:           8
        .value_kind:     by_value
      - .offset:         72
        .size:           8
        .value_kind:     by_value
      - .address_space:  global
        .offset:         80
        .size:           8
        .value_kind:     global_buffer
      - .offset:         88
        .size:           8
        .value_kind:     by_value
      - .offset:         96
        .size:           4
        .value_kind:     by_value
      - .offset:         100
        .size:           1
        .value_kind:     by_value
    .group_segment_fixed_size: 144
    .kernarg_segment_align: 8
    .kernarg_segment_size: 104
    .language:       OpenCL C
    .language_version:
      - 2
      - 0
    .max_flat_workgroup_size: 32
    .name:           _ZN9rocsparseL29gebsrmm_small_blockdim_kernelILi1ELi2ELi2ELi16EfEEv20rocsparse_direction_20rocsparse_operation_iiNS_24const_host_device_scalarIT3_EEPKiS7_PKS4_iiS9_lS5_PS4_l21rocsparse_index_base_b
    .private_segment_fixed_size: 0
    .sgpr_count:     30
    .sgpr_spill_count: 0
    .symbol:         _ZN9rocsparseL29gebsrmm_small_blockdim_kernelILi1ELi2ELi2ELi16EfEEv20rocsparse_direction_20rocsparse_operation_iiNS_24const_host_device_scalarIT3_EEPKiS7_PKS4_iiS9_lS5_PS4_l21rocsparse_index_base_b.kd
    .uniform_work_group_size: 1
    .uses_dynamic_stack: false
    .vgpr_count:     18
    .vgpr_spill_count: 0
    .wavefront_size: 32
  - .args:
      - .offset:         0
        .size:           4
        .value_kind:     by_value
      - .offset:         4
        .size:           4
        .value_kind:     by_value
      - .offset:         8
        .size:           4
        .value_kind:     by_value
      - .offset:         12
        .size:           4
        .value_kind:     by_value
      - .offset:         16
        .size:           8
        .value_kind:     by_value
      - .actual_access:  read_only
        .address_space:  global
        .offset:         24
        .size:           8
        .value_kind:     global_buffer
      - .actual_access:  read_only
        .address_space:  global
        .offset:         32
        .size:           8
        .value_kind:     global_buffer
      - .actual_access:  read_only
        .address_space:  global
        .offset:         40
        .size:           8
        .value_kind:     global_buffer
      - .offset:         48
        .size:           4
        .value_kind:     by_value
      - .offset:         52
        .size:           4
        .value_kind:     by_value
      - .actual_access:  read_only
        .address_space:  global
        .offset:         56
        .size:           8
        .value_kind:     global_buffer
      - .offset:         64
        .size:           8
        .value_kind:     by_value
      - .offset:         72
        .size:           8
        .value_kind:     by_value
      - .address_space:  global
        .offset:         80
        .size:           8
        .value_kind:     global_buffer
      - .offset:         88
        .size:           8
        .value_kind:     by_value
      - .offset:         96
        .size:           4
        .value_kind:     by_value
      - .offset:         100
        .size:           1
        .value_kind:     by_value
    .group_segment_fixed_size: 228
    .kernarg_segment_align: 8
    .kernarg_segment_size: 104
    .language:       OpenCL C
    .language_version:
      - 2
      - 0
    .max_flat_workgroup_size: 48
    .name:           _ZN9rocsparseL29gebsrmm_small_blockdim_kernelILi1ELi3ELi3ELi16EfEEv20rocsparse_direction_20rocsparse_operation_iiNS_24const_host_device_scalarIT3_EEPKiS7_PKS4_iiS9_lS5_PS4_l21rocsparse_index_base_b
    .private_segment_fixed_size: 0
    .sgpr_count:     30
    .sgpr_spill_count: 0
    .symbol:         _ZN9rocsparseL29gebsrmm_small_blockdim_kernelILi1ELi3ELi3ELi16EfEEv20rocsparse_direction_20rocsparse_operation_iiNS_24const_host_device_scalarIT3_EEPKiS7_PKS4_iiS9_lS5_PS4_l21rocsparse_index_base_b.kd
    .uniform_work_group_size: 1
    .uses_dynamic_stack: false
    .vgpr_count:     19
    .vgpr_spill_count: 0
    .wavefront_size: 32
  - .args:
      - .offset:         0
        .size:           4
        .value_kind:     by_value
      - .offset:         4
        .size:           4
        .value_kind:     by_value
      - .offset:         8
        .size:           4
        .value_kind:     by_value
      - .offset:         12
        .size:           4
        .value_kind:     by_value
      - .offset:         16
        .size:           8
        .value_kind:     by_value
      - .actual_access:  read_only
        .address_space:  global
        .offset:         24
        .size:           8
        .value_kind:     global_buffer
      - .actual_access:  read_only
        .address_space:  global
        .offset:         32
        .size:           8
        .value_kind:     global_buffer
      - .actual_access:  read_only
        .address_space:  global
        .offset:         40
        .size:           8
        .value_kind:     global_buffer
      - .offset:         48
        .size:           4
        .value_kind:     by_value
      - .offset:         52
        .size:           4
        .value_kind:     by_value
      - .actual_access:  read_only
        .address_space:  global
        .offset:         56
        .size:           8
        .value_kind:     global_buffer
      - .offset:         64
        .size:           8
        .value_kind:     by_value
      - .offset:         72
        .size:           8
        .value_kind:     by_value
      - .address_space:  global
        .offset:         80
        .size:           8
        .value_kind:     global_buffer
      - .offset:         88
        .size:           8
        .value_kind:     by_value
      - .offset:         96
        .size:           4
        .value_kind:     by_value
      - .offset:         100
        .size:           1
        .value_kind:     by_value
    .group_segment_fixed_size: 320
    .kernarg_segment_align: 8
    .kernarg_segment_size: 104
    .language:       OpenCL C
    .language_version:
      - 2
      - 0
    .max_flat_workgroup_size: 64
    .name:           _ZN9rocsparseL29gebsrmm_small_blockdim_kernelILi1ELi4ELi4ELi16EfEEv20rocsparse_direction_20rocsparse_operation_iiNS_24const_host_device_scalarIT3_EEPKiS7_PKS4_iiS9_lS5_PS4_l21rocsparse_index_base_b
    .private_segment_fixed_size: 0
    .sgpr_count:     30
    .sgpr_spill_count: 0
    .symbol:         _ZN9rocsparseL29gebsrmm_small_blockdim_kernelILi1ELi4ELi4ELi16EfEEv20rocsparse_direction_20rocsparse_operation_iiNS_24const_host_device_scalarIT3_EEPKiS7_PKS4_iiS9_lS5_PS4_l21rocsparse_index_base_b.kd
    .uniform_work_group_size: 1
    .uses_dynamic_stack: false
    .vgpr_count:     22
    .vgpr_spill_count: 0
    .wavefront_size: 32
  - .args:
      - .offset:         0
        .size:           4
        .value_kind:     by_value
      - .offset:         4
        .size:           4
        .value_kind:     by_value
      - .offset:         8
        .size:           4
        .value_kind:     by_value
      - .offset:         12
        .size:           4
        .value_kind:     by_value
      - .offset:         16
        .size:           8
        .value_kind:     by_value
      - .actual_access:  read_only
        .address_space:  global
        .offset:         24
        .size:           8
        .value_kind:     global_buffer
      - .actual_access:  read_only
        .address_space:  global
        .offset:         32
        .size:           8
        .value_kind:     global_buffer
      - .actual_access:  read_only
        .address_space:  global
        .offset:         40
        .size:           8
        .value_kind:     global_buffer
      - .offset:         48
        .size:           4
        .value_kind:     by_value
      - .offset:         52
        .size:           4
        .value_kind:     by_value
      - .actual_access:  read_only
        .address_space:  global
        .offset:         56
        .size:           8
        .value_kind:     global_buffer
      - .offset:         64
        .size:           8
        .value_kind:     by_value
      - .offset:         72
        .size:           8
        .value_kind:     by_value
      - .address_space:  global
        .offset:         80
        .size:           8
        .value_kind:     global_buffer
      - .offset:         88
        .size:           8
        .value_kind:     by_value
      - .offset:         96
        .size:           4
        .value_kind:     by_value
      - .offset:         100
        .size:           1
        .value_kind:     by_value
    .group_segment_fixed_size: 144
    .kernarg_segment_align: 8
    .kernarg_segment_size: 104
    .language:       OpenCL C
    .language_version:
      - 2
      - 0
    .max_flat_workgroup_size: 32
    .name:           _ZN9rocsparseL29gebsrmm_small_blockdim_kernelILi2ELi1ELi2ELi16EfEEv20rocsparse_direction_20rocsparse_operation_iiNS_24const_host_device_scalarIT3_EEPKiS7_PKS4_iiS9_lS5_PS4_l21rocsparse_index_base_b
    .private_segment_fixed_size: 0
    .sgpr_count:     30
    .sgpr_spill_count: 0
    .symbol:         _ZN9rocsparseL29gebsrmm_small_blockdim_kernelILi2ELi1ELi2ELi16EfEEv20rocsparse_direction_20rocsparse_operation_iiNS_24const_host_device_scalarIT3_EEPKiS7_PKS4_iiS9_lS5_PS4_l21rocsparse_index_base_b.kd
    .uniform_work_group_size: 1
    .uses_dynamic_stack: false
    .vgpr_count:     16
    .vgpr_spill_count: 0
    .wavefront_size: 32
  - .args:
      - .offset:         0
        .size:           4
        .value_kind:     by_value
      - .offset:         4
        .size:           4
        .value_kind:     by_value
      - .offset:         8
        .size:           4
        .value_kind:     by_value
      - .offset:         12
        .size:           4
        .value_kind:     by_value
      - .offset:         16
        .size:           8
        .value_kind:     by_value
      - .actual_access:  read_only
        .address_space:  global
        .offset:         24
        .size:           8
        .value_kind:     global_buffer
      - .actual_access:  read_only
        .address_space:  global
        .offset:         32
        .size:           8
        .value_kind:     global_buffer
      - .actual_access:  read_only
        .address_space:  global
        .offset:         40
        .size:           8
        .value_kind:     global_buffer
      - .offset:         48
        .size:           4
        .value_kind:     by_value
      - .offset:         52
        .size:           4
        .value_kind:     by_value
      - .actual_access:  read_only
        .address_space:  global
        .offset:         56
        .size:           8
        .value_kind:     global_buffer
      - .offset:         64
        .size:           8
        .value_kind:     by_value
      - .offset:         72
        .size:           8
        .value_kind:     by_value
      - .address_space:  global
        .offset:         80
        .size:           8
        .value_kind:     global_buffer
      - .offset:         88
        .size:           8
        .value_kind:     by_value
      - .offset:         96
        .size:           4
        .value_kind:     by_value
      - .offset:         100
        .size:           1
        .value_kind:     by_value
    .group_segment_fixed_size: 228
    .kernarg_segment_align: 8
    .kernarg_segment_size: 104
    .language:       OpenCL C
    .language_version:
      - 2
      - 0
    .max_flat_workgroup_size: 48
    .name:           _ZN9rocsparseL29gebsrmm_small_blockdim_kernelILi2ELi3ELi3ELi16EfEEv20rocsparse_direction_20rocsparse_operation_iiNS_24const_host_device_scalarIT3_EEPKiS7_PKS4_iiS9_lS5_PS4_l21rocsparse_index_base_b
    .private_segment_fixed_size: 0
    .sgpr_count:     30
    .sgpr_spill_count: 0
    .symbol:         _ZN9rocsparseL29gebsrmm_small_blockdim_kernelILi2ELi3ELi3ELi16EfEEv20rocsparse_direction_20rocsparse_operation_iiNS_24const_host_device_scalarIT3_EEPKiS7_PKS4_iiS9_lS5_PS4_l21rocsparse_index_base_b.kd
    .uniform_work_group_size: 1
    .uses_dynamic_stack: false
    .vgpr_count:     19
    .vgpr_spill_count: 0
    .wavefront_size: 32
  - .args:
      - .offset:         0
        .size:           4
        .value_kind:     by_value
      - .offset:         4
        .size:           4
        .value_kind:     by_value
      - .offset:         8
        .size:           4
        .value_kind:     by_value
      - .offset:         12
        .size:           4
        .value_kind:     by_value
      - .offset:         16
        .size:           8
        .value_kind:     by_value
      - .actual_access:  read_only
        .address_space:  global
        .offset:         24
        .size:           8
        .value_kind:     global_buffer
      - .actual_access:  read_only
        .address_space:  global
        .offset:         32
        .size:           8
        .value_kind:     global_buffer
      - .actual_access:  read_only
        .address_space:  global
        .offset:         40
        .size:           8
        .value_kind:     global_buffer
      - .offset:         48
        .size:           4
        .value_kind:     by_value
      - .offset:         52
        .size:           4
        .value_kind:     by_value
      - .actual_access:  read_only
        .address_space:  global
        .offset:         56
        .size:           8
        .value_kind:     global_buffer
      - .offset:         64
        .size:           8
        .value_kind:     by_value
      - .offset:         72
        .size:           8
        .value_kind:     by_value
      - .address_space:  global
        .offset:         80
        .size:           8
        .value_kind:     global_buffer
      - .offset:         88
        .size:           8
        .value_kind:     by_value
      - .offset:         96
        .size:           4
        .value_kind:     by_value
      - .offset:         100
        .size:           1
        .value_kind:     by_value
    .group_segment_fixed_size: 320
    .kernarg_segment_align: 8
    .kernarg_segment_size: 104
    .language:       OpenCL C
    .language_version:
      - 2
      - 0
    .max_flat_workgroup_size: 64
    .name:           _ZN9rocsparseL29gebsrmm_small_blockdim_kernelILi2ELi4ELi4ELi16EfEEv20rocsparse_direction_20rocsparse_operation_iiNS_24const_host_device_scalarIT3_EEPKiS7_PKS4_iiS9_lS5_PS4_l21rocsparse_index_base_b
    .private_segment_fixed_size: 0
    .sgpr_count:     30
    .sgpr_spill_count: 0
    .symbol:         _ZN9rocsparseL29gebsrmm_small_blockdim_kernelILi2ELi4ELi4ELi16EfEEv20rocsparse_direction_20rocsparse_operation_iiNS_24const_host_device_scalarIT3_EEPKiS7_PKS4_iiS9_lS5_PS4_l21rocsparse_index_base_b.kd
    .uniform_work_group_size: 1
    .uses_dynamic_stack: false
    .vgpr_count:     22
    .vgpr_spill_count: 0
    .wavefront_size: 32
  - .args:
      - .offset:         0
        .size:           4
        .value_kind:     by_value
      - .offset:         4
        .size:           4
        .value_kind:     by_value
      - .offset:         8
        .size:           4
        .value_kind:     by_value
      - .offset:         12
        .size:           4
        .value_kind:     by_value
      - .offset:         16
        .size:           8
        .value_kind:     by_value
      - .actual_access:  read_only
        .address_space:  global
        .offset:         24
        .size:           8
        .value_kind:     global_buffer
      - .actual_access:  read_only
        .address_space:  global
        .offset:         32
        .size:           8
        .value_kind:     global_buffer
      - .actual_access:  read_only
        .address_space:  global
        .offset:         40
        .size:           8
        .value_kind:     global_buffer
      - .offset:         48
        .size:           4
        .value_kind:     by_value
      - .offset:         52
        .size:           4
        .value_kind:     by_value
      - .actual_access:  read_only
        .address_space:  global
        .offset:         56
        .size:           8
        .value_kind:     global_buffer
      - .offset:         64
        .size:           8
        .value_kind:     by_value
      - .offset:         72
        .size:           8
        .value_kind:     by_value
      - .address_space:  global
        .offset:         80
        .size:           8
        .value_kind:     global_buffer
      - .offset:         88
        .size:           8
        .value_kind:     by_value
      - .offset:         96
        .size:           4
        .value_kind:     by_value
      - .offset:         100
        .size:           1
        .value_kind:     by_value
    .group_segment_fixed_size: 228
    .kernarg_segment_align: 8
    .kernarg_segment_size: 104
    .language:       OpenCL C
    .language_version:
      - 2
      - 0
    .max_flat_workgroup_size: 48
    .name:           _ZN9rocsparseL29gebsrmm_small_blockdim_kernelILi3ELi1ELi3ELi16EfEEv20rocsparse_direction_20rocsparse_operation_iiNS_24const_host_device_scalarIT3_EEPKiS7_PKS4_iiS9_lS5_PS4_l21rocsparse_index_base_b
    .private_segment_fixed_size: 0
    .sgpr_count:     30
    .sgpr_spill_count: 0
    .symbol:         _ZN9rocsparseL29gebsrmm_small_blockdim_kernelILi3ELi1ELi3ELi16EfEEv20rocsparse_direction_20rocsparse_operation_iiNS_24const_host_device_scalarIT3_EEPKiS7_PKS4_iiS9_lS5_PS4_l21rocsparse_index_base_b.kd
    .uniform_work_group_size: 1
    .uses_dynamic_stack: false
    .vgpr_count:     16
    .vgpr_spill_count: 0
    .wavefront_size: 32
  - .args:
      - .offset:         0
        .size:           4
        .value_kind:     by_value
      - .offset:         4
        .size:           4
        .value_kind:     by_value
      - .offset:         8
        .size:           4
        .value_kind:     by_value
      - .offset:         12
        .size:           4
        .value_kind:     by_value
      - .offset:         16
        .size:           8
        .value_kind:     by_value
      - .actual_access:  read_only
        .address_space:  global
        .offset:         24
        .size:           8
        .value_kind:     global_buffer
      - .actual_access:  read_only
        .address_space:  global
        .offset:         32
        .size:           8
        .value_kind:     global_buffer
      - .actual_access:  read_only
        .address_space:  global
        .offset:         40
        .size:           8
        .value_kind:     global_buffer
      - .offset:         48
        .size:           4
        .value_kind:     by_value
      - .offset:         52
        .size:           4
        .value_kind:     by_value
      - .actual_access:  read_only
        .address_space:  global
        .offset:         56
        .size:           8
        .value_kind:     global_buffer
      - .offset:         64
        .size:           8
        .value_kind:     by_value
      - .offset:         72
        .size:           8
        .value_kind:     by_value
      - .address_space:  global
        .offset:         80
        .size:           8
        .value_kind:     global_buffer
      - .offset:         88
        .size:           8
        .value_kind:     by_value
      - .offset:         96
        .size:           4
        .value_kind:     by_value
      - .offset:         100
        .size:           1
        .value_kind:     by_value
    .group_segment_fixed_size: 228
    .kernarg_segment_align: 8
    .kernarg_segment_size: 104
    .language:       OpenCL C
    .language_version:
      - 2
      - 0
    .max_flat_workgroup_size: 48
    .name:           _ZN9rocsparseL29gebsrmm_small_blockdim_kernelILi3ELi2ELi3ELi16EfEEv20rocsparse_direction_20rocsparse_operation_iiNS_24const_host_device_scalarIT3_EEPKiS7_PKS4_iiS9_lS5_PS4_l21rocsparse_index_base_b
    .private_segment_fixed_size: 0
    .sgpr_count:     30
    .sgpr_spill_count: 0
    .symbol:         _ZN9rocsparseL29gebsrmm_small_blockdim_kernelILi3ELi2ELi3ELi16EfEEv20rocsparse_direction_20rocsparse_operation_iiNS_24const_host_device_scalarIT3_EEPKiS7_PKS4_iiS9_lS5_PS4_l21rocsparse_index_base_b.kd
    .uniform_work_group_size: 1
    .uses_dynamic_stack: false
    .vgpr_count:     18
    .vgpr_spill_count: 0
    .wavefront_size: 32
  - .args:
      - .offset:         0
        .size:           4
        .value_kind:     by_value
      - .offset:         4
        .size:           4
        .value_kind:     by_value
      - .offset:         8
        .size:           4
        .value_kind:     by_value
      - .offset:         12
        .size:           4
        .value_kind:     by_value
      - .offset:         16
        .size:           8
        .value_kind:     by_value
      - .actual_access:  read_only
        .address_space:  global
        .offset:         24
        .size:           8
        .value_kind:     global_buffer
      - .actual_access:  read_only
        .address_space:  global
        .offset:         32
        .size:           8
        .value_kind:     global_buffer
      - .actual_access:  read_only
        .address_space:  global
        .offset:         40
        .size:           8
        .value_kind:     global_buffer
      - .offset:         48
        .size:           4
        .value_kind:     by_value
      - .offset:         52
        .size:           4
        .value_kind:     by_value
      - .actual_access:  read_only
        .address_space:  global
        .offset:         56
        .size:           8
        .value_kind:     global_buffer
      - .offset:         64
        .size:           8
        .value_kind:     by_value
      - .offset:         72
        .size:           8
        .value_kind:     by_value
      - .address_space:  global
        .offset:         80
        .size:           8
        .value_kind:     global_buffer
      - .offset:         88
        .size:           8
        .value_kind:     by_value
      - .offset:         96
        .size:           4
        .value_kind:     by_value
      - .offset:         100
        .size:           1
        .value_kind:     by_value
    .group_segment_fixed_size: 320
    .kernarg_segment_align: 8
    .kernarg_segment_size: 104
    .language:       OpenCL C
    .language_version:
      - 2
      - 0
    .max_flat_workgroup_size: 64
    .name:           _ZN9rocsparseL29gebsrmm_small_blockdim_kernelILi3ELi4ELi4ELi16EfEEv20rocsparse_direction_20rocsparse_operation_iiNS_24const_host_device_scalarIT3_EEPKiS7_PKS4_iiS9_lS5_PS4_l21rocsparse_index_base_b
    .private_segment_fixed_size: 0
    .sgpr_count:     30
    .sgpr_spill_count: 0
    .symbol:         _ZN9rocsparseL29gebsrmm_small_blockdim_kernelILi3ELi4ELi4ELi16EfEEv20rocsparse_direction_20rocsparse_operation_iiNS_24const_host_device_scalarIT3_EEPKiS7_PKS4_iiS9_lS5_PS4_l21rocsparse_index_base_b.kd
    .uniform_work_group_size: 1
    .uses_dynamic_stack: false
    .vgpr_count:     22
    .vgpr_spill_count: 0
    .wavefront_size: 32
  - .args:
      - .offset:         0
        .size:           4
        .value_kind:     by_value
      - .offset:         4
        .size:           4
        .value_kind:     by_value
      - .offset:         8
        .size:           4
        .value_kind:     by_value
      - .offset:         12
        .size:           4
        .value_kind:     by_value
      - .offset:         16
        .size:           8
        .value_kind:     by_value
      - .actual_access:  read_only
        .address_space:  global
        .offset:         24
        .size:           8
        .value_kind:     global_buffer
      - .actual_access:  read_only
        .address_space:  global
        .offset:         32
        .size:           8
        .value_kind:     global_buffer
      - .actual_access:  read_only
        .address_space:  global
        .offset:         40
        .size:           8
        .value_kind:     global_buffer
      - .offset:         48
        .size:           4
        .value_kind:     by_value
      - .offset:         52
        .size:           4
        .value_kind:     by_value
      - .actual_access:  read_only
        .address_space:  global
        .offset:         56
        .size:           8
        .value_kind:     global_buffer
      - .offset:         64
        .size:           8
        .value_kind:     by_value
      - .offset:         72
        .size:           8
        .value_kind:     by_value
      - .address_space:  global
        .offset:         80
        .size:           8
        .value_kind:     global_buffer
      - .offset:         88
        .size:           8
        .value_kind:     by_value
      - .offset:         96
        .size:           4
        .value_kind:     by_value
      - .offset:         100
        .size:           1
        .value_kind:     by_value
    .group_segment_fixed_size: 320
    .kernarg_segment_align: 8
    .kernarg_segment_size: 104
    .language:       OpenCL C
    .language_version:
      - 2
      - 0
    .max_flat_workgroup_size: 64
    .name:           _ZN9rocsparseL29gebsrmm_small_blockdim_kernelILi4ELi1ELi4ELi16EfEEv20rocsparse_direction_20rocsparse_operation_iiNS_24const_host_device_scalarIT3_EEPKiS7_PKS4_iiS9_lS5_PS4_l21rocsparse_index_base_b
    .private_segment_fixed_size: 0
    .sgpr_count:     30
    .sgpr_spill_count: 0
    .symbol:         _ZN9rocsparseL29gebsrmm_small_blockdim_kernelILi4ELi1ELi4ELi16EfEEv20rocsparse_direction_20rocsparse_operation_iiNS_24const_host_device_scalarIT3_EEPKiS7_PKS4_iiS9_lS5_PS4_l21rocsparse_index_base_b.kd
    .uniform_work_group_size: 1
    .uses_dynamic_stack: false
    .vgpr_count:     16
    .vgpr_spill_count: 0
    .wavefront_size: 32
  - .args:
      - .offset:         0
        .size:           4
        .value_kind:     by_value
      - .offset:         4
        .size:           4
        .value_kind:     by_value
      - .offset:         8
        .size:           4
        .value_kind:     by_value
      - .offset:         12
        .size:           4
        .value_kind:     by_value
      - .offset:         16
        .size:           8
        .value_kind:     by_value
      - .actual_access:  read_only
        .address_space:  global
        .offset:         24
        .size:           8
        .value_kind:     global_buffer
      - .actual_access:  read_only
        .address_space:  global
        .offset:         32
        .size:           8
        .value_kind:     global_buffer
      - .actual_access:  read_only
        .address_space:  global
        .offset:         40
        .size:           8
        .value_kind:     global_buffer
      - .offset:         48
        .size:           4
        .value_kind:     by_value
      - .offset:         52
        .size:           4
        .value_kind:     by_value
      - .actual_access:  read_only
        .address_space:  global
        .offset:         56
        .size:           8
        .value_kind:     global_buffer
      - .offset:         64
        .size:           8
        .value_kind:     by_value
      - .offset:         72
        .size:           8
        .value_kind:     by_value
      - .address_space:  global
        .offset:         80
        .size:           8
        .value_kind:     global_buffer
      - .offset:         88
        .size:           8
        .value_kind:     by_value
      - .offset:         96
        .size:           4
        .value_kind:     by_value
      - .offset:         100
        .size:           1
        .value_kind:     by_value
    .group_segment_fixed_size: 320
    .kernarg_segment_align: 8
    .kernarg_segment_size: 104
    .language:       OpenCL C
    .language_version:
      - 2
      - 0
    .max_flat_workgroup_size: 64
    .name:           _ZN9rocsparseL29gebsrmm_small_blockdim_kernelILi4ELi2ELi4ELi16EfEEv20rocsparse_direction_20rocsparse_operation_iiNS_24const_host_device_scalarIT3_EEPKiS7_PKS4_iiS9_lS5_PS4_l21rocsparse_index_base_b
    .private_segment_fixed_size: 0
    .sgpr_count:     30
    .sgpr_spill_count: 0
    .symbol:         _ZN9rocsparseL29gebsrmm_small_blockdim_kernelILi4ELi2ELi4ELi16EfEEv20rocsparse_direction_20rocsparse_operation_iiNS_24const_host_device_scalarIT3_EEPKiS7_PKS4_iiS9_lS5_PS4_l21rocsparse_index_base_b.kd
    .uniform_work_group_size: 1
    .uses_dynamic_stack: false
    .vgpr_count:     18
    .vgpr_spill_count: 0
    .wavefront_size: 32
  - .args:
      - .offset:         0
        .size:           4
        .value_kind:     by_value
      - .offset:         4
        .size:           4
        .value_kind:     by_value
      - .offset:         8
        .size:           4
        .value_kind:     by_value
      - .offset:         12
        .size:           4
        .value_kind:     by_value
      - .offset:         16
        .size:           8
        .value_kind:     by_value
      - .actual_access:  read_only
        .address_space:  global
        .offset:         24
        .size:           8
        .value_kind:     global_buffer
      - .actual_access:  read_only
        .address_space:  global
        .offset:         32
        .size:           8
        .value_kind:     global_buffer
      - .actual_access:  read_only
        .address_space:  global
        .offset:         40
        .size:           8
        .value_kind:     global_buffer
      - .offset:         48
        .size:           4
        .value_kind:     by_value
      - .offset:         52
        .size:           4
        .value_kind:     by_value
      - .actual_access:  read_only
        .address_space:  global
        .offset:         56
        .size:           8
        .value_kind:     global_buffer
      - .offset:         64
        .size:           8
        .value_kind:     by_value
      - .offset:         72
        .size:           8
        .value_kind:     by_value
      - .address_space:  global
        .offset:         80
        .size:           8
        .value_kind:     global_buffer
      - .offset:         88
        .size:           8
        .value_kind:     by_value
      - .offset:         96
        .size:           4
        .value_kind:     by_value
      - .offset:         100
        .size:           1
        .value_kind:     by_value
    .group_segment_fixed_size: 320
    .kernarg_segment_align: 8
    .kernarg_segment_size: 104
    .language:       OpenCL C
    .language_version:
      - 2
      - 0
    .max_flat_workgroup_size: 64
    .name:           _ZN9rocsparseL29gebsrmm_small_blockdim_kernelILi4ELi3ELi4ELi16EfEEv20rocsparse_direction_20rocsparse_operation_iiNS_24const_host_device_scalarIT3_EEPKiS7_PKS4_iiS9_lS5_PS4_l21rocsparse_index_base_b
    .private_segment_fixed_size: 0
    .sgpr_count:     30
    .sgpr_spill_count: 0
    .symbol:         _ZN9rocsparseL29gebsrmm_small_blockdim_kernelILi4ELi3ELi4ELi16EfEEv20rocsparse_direction_20rocsparse_operation_iiNS_24const_host_device_scalarIT3_EEPKiS7_PKS4_iiS9_lS5_PS4_l21rocsparse_index_base_b.kd
    .uniform_work_group_size: 1
    .uses_dynamic_stack: false
    .vgpr_count:     20
    .vgpr_spill_count: 0
    .wavefront_size: 32
  - .args:
      - .offset:         0
        .size:           4
        .value_kind:     by_value
      - .offset:         4
        .size:           4
        .value_kind:     by_value
      - .offset:         8
        .size:           4
        .value_kind:     by_value
      - .offset:         12
        .size:           4
        .value_kind:     by_value
      - .offset:         16
        .size:           8
        .value_kind:     by_value
      - .actual_access:  read_only
        .address_space:  global
        .offset:         24
        .size:           8
        .value_kind:     global_buffer
      - .actual_access:  read_only
        .address_space:  global
        .offset:         32
        .size:           8
        .value_kind:     global_buffer
      - .actual_access:  read_only
        .address_space:  global
        .offset:         40
        .size:           8
        .value_kind:     global_buffer
      - .offset:         48
        .size:           4
        .value_kind:     by_value
      - .offset:         52
        .size:           4
        .value_kind:     by_value
      - .actual_access:  read_only
        .address_space:  global
        .offset:         56
        .size:           8
        .value_kind:     global_buffer
      - .offset:         64
        .size:           8
        .value_kind:     by_value
      - .offset:         72
        .size:           8
        .value_kind:     by_value
      - .address_space:  global
        .offset:         80
        .size:           8
        .value_kind:     global_buffer
      - .offset:         88
        .size:           8
        .value_kind:     by_value
      - .offset:         96
        .size:           4
        .value_kind:     by_value
      - .offset:         100
        .size:           1
        .value_kind:     by_value
    .group_segment_fixed_size: 288
    .kernarg_segment_align: 8
    .kernarg_segment_size: 104
    .language:       OpenCL C
    .language_version:
      - 2
      - 0
    .max_flat_workgroup_size: 32
    .name:           _ZN9rocsparseL29gebsrmm_small_blockdim_kernelILi1ELi2ELi2ELi16EdEEv20rocsparse_direction_20rocsparse_operation_iiNS_24const_host_device_scalarIT3_EEPKiS7_PKS4_iiS9_lS5_PS4_l21rocsparse_index_base_b
    .private_segment_fixed_size: 0
    .sgpr_count:     26
    .sgpr_spill_count: 0
    .symbol:         _ZN9rocsparseL29gebsrmm_small_blockdim_kernelILi1ELi2ELi2ELi16EdEEv20rocsparse_direction_20rocsparse_operation_iiNS_24const_host_device_scalarIT3_EEPKiS7_PKS4_iiS9_lS5_PS4_l21rocsparse_index_base_b.kd
    .uniform_work_group_size: 1
    .uses_dynamic_stack: false
    .vgpr_count:     28
    .vgpr_spill_count: 0
    .wavefront_size: 32
  - .args:
      - .offset:         0
        .size:           4
        .value_kind:     by_value
      - .offset:         4
        .size:           4
        .value_kind:     by_value
      - .offset:         8
        .size:           4
        .value_kind:     by_value
      - .offset:         12
        .size:           4
        .value_kind:     by_value
      - .offset:         16
        .size:           8
        .value_kind:     by_value
      - .actual_access:  read_only
        .address_space:  global
        .offset:         24
        .size:           8
        .value_kind:     global_buffer
      - .actual_access:  read_only
        .address_space:  global
        .offset:         32
        .size:           8
        .value_kind:     global_buffer
      - .actual_access:  read_only
        .address_space:  global
        .offset:         40
        .size:           8
        .value_kind:     global_buffer
      - .offset:         48
        .size:           4
        .value_kind:     by_value
      - .offset:         52
        .size:           4
        .value_kind:     by_value
      - .actual_access:  read_only
        .address_space:  global
        .offset:         56
        .size:           8
        .value_kind:     global_buffer
      - .offset:         64
        .size:           8
        .value_kind:     by_value
      - .offset:         72
        .size:           8
        .value_kind:     by_value
      - .address_space:  global
        .offset:         80
        .size:           8
        .value_kind:     global_buffer
      - .offset:         88
        .size:           8
        .value_kind:     by_value
      - .offset:         96
        .size:           4
        .value_kind:     by_value
      - .offset:         100
        .size:           1
        .value_kind:     by_value
    .group_segment_fixed_size: 456
    .kernarg_segment_align: 8
    .kernarg_segment_size: 104
    .language:       OpenCL C
    .language_version:
      - 2
      - 0
    .max_flat_workgroup_size: 48
    .name:           _ZN9rocsparseL29gebsrmm_small_blockdim_kernelILi1ELi3ELi3ELi16EdEEv20rocsparse_direction_20rocsparse_operation_iiNS_24const_host_device_scalarIT3_EEPKiS7_PKS4_iiS9_lS5_PS4_l21rocsparse_index_base_b
    .private_segment_fixed_size: 0
    .sgpr_count:     26
    .sgpr_spill_count: 0
    .symbol:         _ZN9rocsparseL29gebsrmm_small_blockdim_kernelILi1ELi3ELi3ELi16EdEEv20rocsparse_direction_20rocsparse_operation_iiNS_24const_host_device_scalarIT3_EEPKiS7_PKS4_iiS9_lS5_PS4_l21rocsparse_index_base_b.kd
    .uniform_work_group_size: 1
    .uses_dynamic_stack: false
    .vgpr_count:     28
    .vgpr_spill_count: 0
    .wavefront_size: 32
  - .args:
      - .offset:         0
        .size:           4
        .value_kind:     by_value
      - .offset:         4
        .size:           4
        .value_kind:     by_value
      - .offset:         8
        .size:           4
        .value_kind:     by_value
      - .offset:         12
        .size:           4
        .value_kind:     by_value
      - .offset:         16
        .size:           8
        .value_kind:     by_value
      - .actual_access:  read_only
        .address_space:  global
        .offset:         24
        .size:           8
        .value_kind:     global_buffer
      - .actual_access:  read_only
        .address_space:  global
        .offset:         32
        .size:           8
        .value_kind:     global_buffer
      - .actual_access:  read_only
        .address_space:  global
        .offset:         40
        .size:           8
        .value_kind:     global_buffer
      - .offset:         48
        .size:           4
        .value_kind:     by_value
      - .offset:         52
        .size:           4
        .value_kind:     by_value
      - .actual_access:  read_only
        .address_space:  global
        .offset:         56
        .size:           8
        .value_kind:     global_buffer
      - .offset:         64
        .size:           8
        .value_kind:     by_value
      - .offset:         72
        .size:           8
        .value_kind:     by_value
      - .address_space:  global
        .offset:         80
        .size:           8
        .value_kind:     global_buffer
      - .offset:         88
        .size:           8
        .value_kind:     by_value
      - .offset:         96
        .size:           4
        .value_kind:     by_value
      - .offset:         100
        .size:           1
        .value_kind:     by_value
    .group_segment_fixed_size: 640
    .kernarg_segment_align: 8
    .kernarg_segment_size: 104
    .language:       OpenCL C
    .language_version:
      - 2
      - 0
    .max_flat_workgroup_size: 64
    .name:           _ZN9rocsparseL29gebsrmm_small_blockdim_kernelILi1ELi4ELi4ELi16EdEEv20rocsparse_direction_20rocsparse_operation_iiNS_24const_host_device_scalarIT3_EEPKiS7_PKS4_iiS9_lS5_PS4_l21rocsparse_index_base_b
    .private_segment_fixed_size: 0
    .sgpr_count:     26
    .sgpr_spill_count: 0
    .symbol:         _ZN9rocsparseL29gebsrmm_small_blockdim_kernelILi1ELi4ELi4ELi16EdEEv20rocsparse_direction_20rocsparse_operation_iiNS_24const_host_device_scalarIT3_EEPKiS7_PKS4_iiS9_lS5_PS4_l21rocsparse_index_base_b.kd
    .uniform_work_group_size: 1
    .uses_dynamic_stack: false
    .vgpr_count:     32
    .vgpr_spill_count: 0
    .wavefront_size: 32
  - .args:
      - .offset:         0
        .size:           4
        .value_kind:     by_value
      - .offset:         4
        .size:           4
        .value_kind:     by_value
      - .offset:         8
        .size:           4
        .value_kind:     by_value
      - .offset:         12
        .size:           4
        .value_kind:     by_value
      - .offset:         16
        .size:           8
        .value_kind:     by_value
      - .actual_access:  read_only
        .address_space:  global
        .offset:         24
        .size:           8
        .value_kind:     global_buffer
      - .actual_access:  read_only
        .address_space:  global
        .offset:         32
        .size:           8
        .value_kind:     global_buffer
      - .actual_access:  read_only
        .address_space:  global
        .offset:         40
        .size:           8
        .value_kind:     global_buffer
      - .offset:         48
        .size:           4
        .value_kind:     by_value
      - .offset:         52
        .size:           4
        .value_kind:     by_value
      - .actual_access:  read_only
        .address_space:  global
        .offset:         56
        .size:           8
        .value_kind:     global_buffer
      - .offset:         64
        .size:           8
        .value_kind:     by_value
      - .offset:         72
        .size:           8
        .value_kind:     by_value
      - .address_space:  global
        .offset:         80
        .size:           8
        .value_kind:     global_buffer
      - .offset:         88
        .size:           8
        .value_kind:     by_value
      - .offset:         96
        .size:           4
        .value_kind:     by_value
      - .offset:         100
        .size:           1
        .value_kind:     by_value
    .group_segment_fixed_size: 288
    .kernarg_segment_align: 8
    .kernarg_segment_size: 104
    .language:       OpenCL C
    .language_version:
      - 2
      - 0
    .max_flat_workgroup_size: 32
    .name:           _ZN9rocsparseL29gebsrmm_small_blockdim_kernelILi2ELi1ELi2ELi16EdEEv20rocsparse_direction_20rocsparse_operation_iiNS_24const_host_device_scalarIT3_EEPKiS7_PKS4_iiS9_lS5_PS4_l21rocsparse_index_base_b
    .private_segment_fixed_size: 0
    .sgpr_count:     26
    .sgpr_spill_count: 0
    .symbol:         _ZN9rocsparseL29gebsrmm_small_blockdim_kernelILi2ELi1ELi2ELi16EdEEv20rocsparse_direction_20rocsparse_operation_iiNS_24const_host_device_scalarIT3_EEPKiS7_PKS4_iiS9_lS5_PS4_l21rocsparse_index_base_b.kd
    .uniform_work_group_size: 1
    .uses_dynamic_stack: false
    .vgpr_count:     22
    .vgpr_spill_count: 0
    .wavefront_size: 32
  - .args:
      - .offset:         0
        .size:           4
        .value_kind:     by_value
      - .offset:         4
        .size:           4
        .value_kind:     by_value
      - .offset:         8
        .size:           4
        .value_kind:     by_value
      - .offset:         12
        .size:           4
        .value_kind:     by_value
      - .offset:         16
        .size:           8
        .value_kind:     by_value
      - .actual_access:  read_only
        .address_space:  global
        .offset:         24
        .size:           8
        .value_kind:     global_buffer
      - .actual_access:  read_only
        .address_space:  global
        .offset:         32
        .size:           8
        .value_kind:     global_buffer
      - .actual_access:  read_only
        .address_space:  global
        .offset:         40
        .size:           8
        .value_kind:     global_buffer
      - .offset:         48
        .size:           4
        .value_kind:     by_value
      - .offset:         52
        .size:           4
        .value_kind:     by_value
      - .actual_access:  read_only
        .address_space:  global
        .offset:         56
        .size:           8
        .value_kind:     global_buffer
      - .offset:         64
        .size:           8
        .value_kind:     by_value
      - .offset:         72
        .size:           8
        .value_kind:     by_value
      - .address_space:  global
        .offset:         80
        .size:           8
        .value_kind:     global_buffer
      - .offset:         88
        .size:           8
        .value_kind:     by_value
      - .offset:         96
        .size:           4
        .value_kind:     by_value
      - .offset:         100
        .size:           1
        .value_kind:     by_value
    .group_segment_fixed_size: 456
    .kernarg_segment_align: 8
    .kernarg_segment_size: 104
    .language:       OpenCL C
    .language_version:
      - 2
      - 0
    .max_flat_workgroup_size: 48
    .name:           _ZN9rocsparseL29gebsrmm_small_blockdim_kernelILi2ELi3ELi3ELi16EdEEv20rocsparse_direction_20rocsparse_operation_iiNS_24const_host_device_scalarIT3_EEPKiS7_PKS4_iiS9_lS5_PS4_l21rocsparse_index_base_b
    .private_segment_fixed_size: 0
    .sgpr_count:     26
    .sgpr_spill_count: 0
    .symbol:         _ZN9rocsparseL29gebsrmm_small_blockdim_kernelILi2ELi3ELi3ELi16EdEEv20rocsparse_direction_20rocsparse_operation_iiNS_24const_host_device_scalarIT3_EEPKiS7_PKS4_iiS9_lS5_PS4_l21rocsparse_index_base_b.kd
    .uniform_work_group_size: 1
    .uses_dynamic_stack: false
    .vgpr_count:     28
    .vgpr_spill_count: 0
    .wavefront_size: 32
  - .args:
      - .offset:         0
        .size:           4
        .value_kind:     by_value
      - .offset:         4
        .size:           4
        .value_kind:     by_value
      - .offset:         8
        .size:           4
        .value_kind:     by_value
      - .offset:         12
        .size:           4
        .value_kind:     by_value
      - .offset:         16
        .size:           8
        .value_kind:     by_value
      - .actual_access:  read_only
        .address_space:  global
        .offset:         24
        .size:           8
        .value_kind:     global_buffer
      - .actual_access:  read_only
        .address_space:  global
        .offset:         32
        .size:           8
        .value_kind:     global_buffer
      - .actual_access:  read_only
        .address_space:  global
        .offset:         40
        .size:           8
        .value_kind:     global_buffer
      - .offset:         48
        .size:           4
        .value_kind:     by_value
      - .offset:         52
        .size:           4
        .value_kind:     by_value
      - .actual_access:  read_only
        .address_space:  global
        .offset:         56
        .size:           8
        .value_kind:     global_buffer
      - .offset:         64
        .size:           8
        .value_kind:     by_value
      - .offset:         72
        .size:           8
        .value_kind:     by_value
      - .address_space:  global
        .offset:         80
        .size:           8
        .value_kind:     global_buffer
      - .offset:         88
        .size:           8
        .value_kind:     by_value
      - .offset:         96
        .size:           4
        .value_kind:     by_value
      - .offset:         100
        .size:           1
        .value_kind:     by_value
    .group_segment_fixed_size: 640
    .kernarg_segment_align: 8
    .kernarg_segment_size: 104
    .language:       OpenCL C
    .language_version:
      - 2
      - 0
    .max_flat_workgroup_size: 64
    .name:           _ZN9rocsparseL29gebsrmm_small_blockdim_kernelILi2ELi4ELi4ELi16EdEEv20rocsparse_direction_20rocsparse_operation_iiNS_24const_host_device_scalarIT3_EEPKiS7_PKS4_iiS9_lS5_PS4_l21rocsparse_index_base_b
    .private_segment_fixed_size: 0
    .sgpr_count:     26
    .sgpr_spill_count: 0
    .symbol:         _ZN9rocsparseL29gebsrmm_small_blockdim_kernelILi2ELi4ELi4ELi16EdEEv20rocsparse_direction_20rocsparse_operation_iiNS_24const_host_device_scalarIT3_EEPKiS7_PKS4_iiS9_lS5_PS4_l21rocsparse_index_base_b.kd
    .uniform_work_group_size: 1
    .uses_dynamic_stack: false
    .vgpr_count:     32
    .vgpr_spill_count: 0
    .wavefront_size: 32
  - .args:
      - .offset:         0
        .size:           4
        .value_kind:     by_value
      - .offset:         4
        .size:           4
        .value_kind:     by_value
      - .offset:         8
        .size:           4
        .value_kind:     by_value
      - .offset:         12
        .size:           4
        .value_kind:     by_value
      - .offset:         16
        .size:           8
        .value_kind:     by_value
      - .actual_access:  read_only
        .address_space:  global
        .offset:         24
        .size:           8
        .value_kind:     global_buffer
      - .actual_access:  read_only
        .address_space:  global
        .offset:         32
        .size:           8
        .value_kind:     global_buffer
      - .actual_access:  read_only
        .address_space:  global
        .offset:         40
        .size:           8
        .value_kind:     global_buffer
      - .offset:         48
        .size:           4
        .value_kind:     by_value
      - .offset:         52
        .size:           4
        .value_kind:     by_value
      - .actual_access:  read_only
        .address_space:  global
        .offset:         56
        .size:           8
        .value_kind:     global_buffer
      - .offset:         64
        .size:           8
        .value_kind:     by_value
      - .offset:         72
        .size:           8
        .value_kind:     by_value
      - .address_space:  global
        .offset:         80
        .size:           8
        .value_kind:     global_buffer
      - .offset:         88
        .size:           8
        .value_kind:     by_value
      - .offset:         96
        .size:           4
        .value_kind:     by_value
      - .offset:         100
        .size:           1
        .value_kind:     by_value
    .group_segment_fixed_size: 456
    .kernarg_segment_align: 8
    .kernarg_segment_size: 104
    .language:       OpenCL C
    .language_version:
      - 2
      - 0
    .max_flat_workgroup_size: 48
    .name:           _ZN9rocsparseL29gebsrmm_small_blockdim_kernelILi3ELi1ELi3ELi16EdEEv20rocsparse_direction_20rocsparse_operation_iiNS_24const_host_device_scalarIT3_EEPKiS7_PKS4_iiS9_lS5_PS4_l21rocsparse_index_base_b
    .private_segment_fixed_size: 0
    .sgpr_count:     26
    .sgpr_spill_count: 0
    .symbol:         _ZN9rocsparseL29gebsrmm_small_blockdim_kernelILi3ELi1ELi3ELi16EdEEv20rocsparse_direction_20rocsparse_operation_iiNS_24const_host_device_scalarIT3_EEPKiS7_PKS4_iiS9_lS5_PS4_l21rocsparse_index_base_b.kd
    .uniform_work_group_size: 1
    .uses_dynamic_stack: false
    .vgpr_count:     22
    .vgpr_spill_count: 0
    .wavefront_size: 32
  - .args:
      - .offset:         0
        .size:           4
        .value_kind:     by_value
      - .offset:         4
        .size:           4
        .value_kind:     by_value
      - .offset:         8
        .size:           4
        .value_kind:     by_value
      - .offset:         12
        .size:           4
        .value_kind:     by_value
      - .offset:         16
        .size:           8
        .value_kind:     by_value
      - .actual_access:  read_only
        .address_space:  global
        .offset:         24
        .size:           8
        .value_kind:     global_buffer
      - .actual_access:  read_only
        .address_space:  global
        .offset:         32
        .size:           8
        .value_kind:     global_buffer
      - .actual_access:  read_only
        .address_space:  global
        .offset:         40
        .size:           8
        .value_kind:     global_buffer
      - .offset:         48
        .size:           4
        .value_kind:     by_value
      - .offset:         52
        .size:           4
        .value_kind:     by_value
      - .actual_access:  read_only
        .address_space:  global
        .offset:         56
        .size:           8
        .value_kind:     global_buffer
      - .offset:         64
        .size:           8
        .value_kind:     by_value
      - .offset:         72
        .size:           8
        .value_kind:     by_value
      - .address_space:  global
        .offset:         80
        .size:           8
        .value_kind:     global_buffer
      - .offset:         88
        .size:           8
        .value_kind:     by_value
      - .offset:         96
        .size:           4
        .value_kind:     by_value
      - .offset:         100
        .size:           1
        .value_kind:     by_value
    .group_segment_fixed_size: 456
    .kernarg_segment_align: 8
    .kernarg_segment_size: 104
    .language:       OpenCL C
    .language_version:
      - 2
      - 0
    .max_flat_workgroup_size: 48
    .name:           _ZN9rocsparseL29gebsrmm_small_blockdim_kernelILi3ELi2ELi3ELi16EdEEv20rocsparse_direction_20rocsparse_operation_iiNS_24const_host_device_scalarIT3_EEPKiS7_PKS4_iiS9_lS5_PS4_l21rocsparse_index_base_b
    .private_segment_fixed_size: 0
    .sgpr_count:     26
    .sgpr_spill_count: 0
    .symbol:         _ZN9rocsparseL29gebsrmm_small_blockdim_kernelILi3ELi2ELi3ELi16EdEEv20rocsparse_direction_20rocsparse_operation_iiNS_24const_host_device_scalarIT3_EEPKiS7_PKS4_iiS9_lS5_PS4_l21rocsparse_index_base_b.kd
    .uniform_work_group_size: 1
    .uses_dynamic_stack: false
    .vgpr_count:     28
    .vgpr_spill_count: 0
    .wavefront_size: 32
  - .args:
      - .offset:         0
        .size:           4
        .value_kind:     by_value
      - .offset:         4
        .size:           4
        .value_kind:     by_value
      - .offset:         8
        .size:           4
        .value_kind:     by_value
      - .offset:         12
        .size:           4
        .value_kind:     by_value
      - .offset:         16
        .size:           8
        .value_kind:     by_value
      - .actual_access:  read_only
        .address_space:  global
        .offset:         24
        .size:           8
        .value_kind:     global_buffer
      - .actual_access:  read_only
        .address_space:  global
        .offset:         32
        .size:           8
        .value_kind:     global_buffer
      - .actual_access:  read_only
        .address_space:  global
        .offset:         40
        .size:           8
        .value_kind:     global_buffer
      - .offset:         48
        .size:           4
        .value_kind:     by_value
      - .offset:         52
        .size:           4
        .value_kind:     by_value
      - .actual_access:  read_only
        .address_space:  global
        .offset:         56
        .size:           8
        .value_kind:     global_buffer
      - .offset:         64
        .size:           8
        .value_kind:     by_value
      - .offset:         72
        .size:           8
        .value_kind:     by_value
      - .address_space:  global
        .offset:         80
        .size:           8
        .value_kind:     global_buffer
      - .offset:         88
        .size:           8
        .value_kind:     by_value
      - .offset:         96
        .size:           4
        .value_kind:     by_value
      - .offset:         100
        .size:           1
        .value_kind:     by_value
    .group_segment_fixed_size: 640
    .kernarg_segment_align: 8
    .kernarg_segment_size: 104
    .language:       OpenCL C
    .language_version:
      - 2
      - 0
    .max_flat_workgroup_size: 64
    .name:           _ZN9rocsparseL29gebsrmm_small_blockdim_kernelILi3ELi4ELi4ELi16EdEEv20rocsparse_direction_20rocsparse_operation_iiNS_24const_host_device_scalarIT3_EEPKiS7_PKS4_iiS9_lS5_PS4_l21rocsparse_index_base_b
    .private_segment_fixed_size: 0
    .sgpr_count:     26
    .sgpr_spill_count: 0
    .symbol:         _ZN9rocsparseL29gebsrmm_small_blockdim_kernelILi3ELi4ELi4ELi16EdEEv20rocsparse_direction_20rocsparse_operation_iiNS_24const_host_device_scalarIT3_EEPKiS7_PKS4_iiS9_lS5_PS4_l21rocsparse_index_base_b.kd
    .uniform_work_group_size: 1
    .uses_dynamic_stack: false
    .vgpr_count:     32
    .vgpr_spill_count: 0
    .wavefront_size: 32
  - .args:
      - .offset:         0
        .size:           4
        .value_kind:     by_value
      - .offset:         4
        .size:           4
        .value_kind:     by_value
      - .offset:         8
        .size:           4
        .value_kind:     by_value
      - .offset:         12
        .size:           4
        .value_kind:     by_value
      - .offset:         16
        .size:           8
        .value_kind:     by_value
      - .actual_access:  read_only
        .address_space:  global
        .offset:         24
        .size:           8
        .value_kind:     global_buffer
      - .actual_access:  read_only
        .address_space:  global
        .offset:         32
        .size:           8
        .value_kind:     global_buffer
      - .actual_access:  read_only
        .address_space:  global
        .offset:         40
        .size:           8
        .value_kind:     global_buffer
      - .offset:         48
        .size:           4
        .value_kind:     by_value
      - .offset:         52
        .size:           4
        .value_kind:     by_value
      - .actual_access:  read_only
        .address_space:  global
        .offset:         56
        .size:           8
        .value_kind:     global_buffer
      - .offset:         64
        .size:           8
        .value_kind:     by_value
      - .offset:         72
        .size:           8
        .value_kind:     by_value
      - .address_space:  global
        .offset:         80
        .size:           8
        .value_kind:     global_buffer
      - .offset:         88
        .size:           8
        .value_kind:     by_value
      - .offset:         96
        .size:           4
        .value_kind:     by_value
      - .offset:         100
        .size:           1
        .value_kind:     by_value
    .group_segment_fixed_size: 640
    .kernarg_segment_align: 8
    .kernarg_segment_size: 104
    .language:       OpenCL C
    .language_version:
      - 2
      - 0
    .max_flat_workgroup_size: 64
    .name:           _ZN9rocsparseL29gebsrmm_small_blockdim_kernelILi4ELi1ELi4ELi16EdEEv20rocsparse_direction_20rocsparse_operation_iiNS_24const_host_device_scalarIT3_EEPKiS7_PKS4_iiS9_lS5_PS4_l21rocsparse_index_base_b
    .private_segment_fixed_size: 0
    .sgpr_count:     26
    .sgpr_spill_count: 0
    .symbol:         _ZN9rocsparseL29gebsrmm_small_blockdim_kernelILi4ELi1ELi4ELi16EdEEv20rocsparse_direction_20rocsparse_operation_iiNS_24const_host_device_scalarIT3_EEPKiS7_PKS4_iiS9_lS5_PS4_l21rocsparse_index_base_b.kd
    .uniform_work_group_size: 1
    .uses_dynamic_stack: false
    .vgpr_count:     22
    .vgpr_spill_count: 0
    .wavefront_size: 32
  - .args:
      - .offset:         0
        .size:           4
        .value_kind:     by_value
      - .offset:         4
        .size:           4
        .value_kind:     by_value
      - .offset:         8
        .size:           4
        .value_kind:     by_value
      - .offset:         12
        .size:           4
        .value_kind:     by_value
      - .offset:         16
        .size:           8
        .value_kind:     by_value
      - .actual_access:  read_only
        .address_space:  global
        .offset:         24
        .size:           8
        .value_kind:     global_buffer
      - .actual_access:  read_only
        .address_space:  global
        .offset:         32
        .size:           8
        .value_kind:     global_buffer
      - .actual_access:  read_only
        .address_space:  global
        .offset:         40
        .size:           8
        .value_kind:     global_buffer
      - .offset:         48
        .size:           4
        .value_kind:     by_value
      - .offset:         52
        .size:           4
        .value_kind:     by_value
      - .actual_access:  read_only
        .address_space:  global
        .offset:         56
        .size:           8
        .value_kind:     global_buffer
      - .offset:         64
        .size:           8
        .value_kind:     by_value
      - .offset:         72
        .size:           8
        .value_kind:     by_value
      - .address_space:  global
        .offset:         80
        .size:           8
        .value_kind:     global_buffer
      - .offset:         88
        .size:           8
        .value_kind:     by_value
      - .offset:         96
        .size:           4
        .value_kind:     by_value
      - .offset:         100
        .size:           1
        .value_kind:     by_value
    .group_segment_fixed_size: 640
    .kernarg_segment_align: 8
    .kernarg_segment_size: 104
    .language:       OpenCL C
    .language_version:
      - 2
      - 0
    .max_flat_workgroup_size: 64
    .name:           _ZN9rocsparseL29gebsrmm_small_blockdim_kernelILi4ELi2ELi4ELi16EdEEv20rocsparse_direction_20rocsparse_operation_iiNS_24const_host_device_scalarIT3_EEPKiS7_PKS4_iiS9_lS5_PS4_l21rocsparse_index_base_b
    .private_segment_fixed_size: 0
    .sgpr_count:     26
    .sgpr_spill_count: 0
    .symbol:         _ZN9rocsparseL29gebsrmm_small_blockdim_kernelILi4ELi2ELi4ELi16EdEEv20rocsparse_direction_20rocsparse_operation_iiNS_24const_host_device_scalarIT3_EEPKiS7_PKS4_iiS9_lS5_PS4_l21rocsparse_index_base_b.kd
    .uniform_work_group_size: 1
    .uses_dynamic_stack: false
    .vgpr_count:     28
    .vgpr_spill_count: 0
    .wavefront_size: 32
  - .args:
      - .offset:         0
        .size:           4
        .value_kind:     by_value
      - .offset:         4
        .size:           4
        .value_kind:     by_value
      - .offset:         8
        .size:           4
        .value_kind:     by_value
      - .offset:         12
        .size:           4
        .value_kind:     by_value
      - .offset:         16
        .size:           8
        .value_kind:     by_value
      - .actual_access:  read_only
        .address_space:  global
        .offset:         24
        .size:           8
        .value_kind:     global_buffer
      - .actual_access:  read_only
        .address_space:  global
        .offset:         32
        .size:           8
        .value_kind:     global_buffer
      - .actual_access:  read_only
        .address_space:  global
        .offset:         40
        .size:           8
        .value_kind:     global_buffer
      - .offset:         48
        .size:           4
        .value_kind:     by_value
      - .offset:         52
        .size:           4
        .value_kind:     by_value
      - .actual_access:  read_only
        .address_space:  global
        .offset:         56
        .size:           8
        .value_kind:     global_buffer
      - .offset:         64
        .size:           8
        .value_kind:     by_value
      - .offset:         72
        .size:           8
        .value_kind:     by_value
      - .address_space:  global
        .offset:         80
        .size:           8
        .value_kind:     global_buffer
      - .offset:         88
        .size:           8
        .value_kind:     by_value
      - .offset:         96
        .size:           4
        .value_kind:     by_value
      - .offset:         100
        .size:           1
        .value_kind:     by_value
    .group_segment_fixed_size: 640
    .kernarg_segment_align: 8
    .kernarg_segment_size: 104
    .language:       OpenCL C
    .language_version:
      - 2
      - 0
    .max_flat_workgroup_size: 64
    .name:           _ZN9rocsparseL29gebsrmm_small_blockdim_kernelILi4ELi3ELi4ELi16EdEEv20rocsparse_direction_20rocsparse_operation_iiNS_24const_host_device_scalarIT3_EEPKiS7_PKS4_iiS9_lS5_PS4_l21rocsparse_index_base_b
    .private_segment_fixed_size: 0
    .sgpr_count:     26
    .sgpr_spill_count: 0
    .symbol:         _ZN9rocsparseL29gebsrmm_small_blockdim_kernelILi4ELi3ELi4ELi16EdEEv20rocsparse_direction_20rocsparse_operation_iiNS_24const_host_device_scalarIT3_EEPKiS7_PKS4_iiS9_lS5_PS4_l21rocsparse_index_base_b.kd
    .uniform_work_group_size: 1
    .uses_dynamic_stack: false
    .vgpr_count:     28
    .vgpr_spill_count: 0
    .wavefront_size: 32
  - .args:
      - .offset:         0
        .size:           4
        .value_kind:     by_value
      - .offset:         4
        .size:           4
        .value_kind:     by_value
      - .offset:         8
        .size:           4
        .value_kind:     by_value
      - .offset:         12
        .size:           4
        .value_kind:     by_value
      - .offset:         16
        .size:           8
        .value_kind:     by_value
      - .actual_access:  read_only
        .address_space:  global
        .offset:         24
        .size:           8
        .value_kind:     global_buffer
      - .actual_access:  read_only
        .address_space:  global
        .offset:         32
        .size:           8
        .value_kind:     global_buffer
      - .actual_access:  read_only
        .address_space:  global
        .offset:         40
        .size:           8
        .value_kind:     global_buffer
      - .offset:         48
        .size:           4
        .value_kind:     by_value
      - .offset:         52
        .size:           4
        .value_kind:     by_value
      - .actual_access:  read_only
        .address_space:  global
        .offset:         56
        .size:           8
        .value_kind:     global_buffer
      - .offset:         64
        .size:           8
        .value_kind:     by_value
      - .offset:         72
        .size:           8
        .value_kind:     by_value
      - .address_space:  global
        .offset:         80
        .size:           8
        .value_kind:     global_buffer
      - .offset:         88
        .size:           8
        .value_kind:     by_value
      - .offset:         96
        .size:           4
        .value_kind:     by_value
      - .offset:         100
        .size:           1
        .value_kind:     by_value
    .group_segment_fixed_size: 288
    .kernarg_segment_align: 8
    .kernarg_segment_size: 104
    .language:       OpenCL C
    .language_version:
      - 2
      - 0
    .max_flat_workgroup_size: 32
    .name:           _ZN9rocsparseL29gebsrmm_small_blockdim_kernelILi1ELi2ELi2ELi16E21rocsparse_complex_numIfEEEv20rocsparse_direction_20rocsparse_operation_iiNS_24const_host_device_scalarIT3_EEPKiS9_PKS6_iiSB_lS7_PS6_l21rocsparse_index_base_b
    .private_segment_fixed_size: 0
    .sgpr_count:     26
    .sgpr_spill_count: 0
    .symbol:         _ZN9rocsparseL29gebsrmm_small_blockdim_kernelILi1ELi2ELi2ELi16E21rocsparse_complex_numIfEEEv20rocsparse_direction_20rocsparse_operation_iiNS_24const_host_device_scalarIT3_EEPKiS9_PKS6_iiSB_lS7_PS6_l21rocsparse_index_base_b.kd
    .uniform_work_group_size: 1
    .uses_dynamic_stack: false
    .vgpr_count:     28
    .vgpr_spill_count: 0
    .wavefront_size: 32
  - .args:
      - .offset:         0
        .size:           4
        .value_kind:     by_value
      - .offset:         4
        .size:           4
        .value_kind:     by_value
      - .offset:         8
        .size:           4
        .value_kind:     by_value
      - .offset:         12
        .size:           4
        .value_kind:     by_value
      - .offset:         16
        .size:           8
        .value_kind:     by_value
      - .actual_access:  read_only
        .address_space:  global
        .offset:         24
        .size:           8
        .value_kind:     global_buffer
      - .actual_access:  read_only
        .address_space:  global
        .offset:         32
        .size:           8
        .value_kind:     global_buffer
      - .actual_access:  read_only
        .address_space:  global
        .offset:         40
        .size:           8
        .value_kind:     global_buffer
      - .offset:         48
        .size:           4
        .value_kind:     by_value
      - .offset:         52
        .size:           4
        .value_kind:     by_value
      - .actual_access:  read_only
        .address_space:  global
        .offset:         56
        .size:           8
        .value_kind:     global_buffer
      - .offset:         64
        .size:           8
        .value_kind:     by_value
      - .offset:         72
        .size:           8
        .value_kind:     by_value
      - .address_space:  global
        .offset:         80
        .size:           8
        .value_kind:     global_buffer
      - .offset:         88
        .size:           8
        .value_kind:     by_value
      - .offset:         96
        .size:           4
        .value_kind:     by_value
      - .offset:         100
        .size:           1
        .value_kind:     by_value
    .group_segment_fixed_size: 456
    .kernarg_segment_align: 8
    .kernarg_segment_size: 104
    .language:       OpenCL C
    .language_version:
      - 2
      - 0
    .max_flat_workgroup_size: 48
    .name:           _ZN9rocsparseL29gebsrmm_small_blockdim_kernelILi1ELi3ELi3ELi16E21rocsparse_complex_numIfEEEv20rocsparse_direction_20rocsparse_operation_iiNS_24const_host_device_scalarIT3_EEPKiS9_PKS6_iiSB_lS7_PS6_l21rocsparse_index_base_b
    .private_segment_fixed_size: 0
    .sgpr_count:     26
    .sgpr_spill_count: 0
    .symbol:         _ZN9rocsparseL29gebsrmm_small_blockdim_kernelILi1ELi3ELi3ELi16E21rocsparse_complex_numIfEEEv20rocsparse_direction_20rocsparse_operation_iiNS_24const_host_device_scalarIT3_EEPKiS9_PKS6_iiSB_lS7_PS6_l21rocsparse_index_base_b.kd
    .uniform_work_group_size: 1
    .uses_dynamic_stack: false
    .vgpr_count:     32
    .vgpr_spill_count: 0
    .wavefront_size: 32
  - .args:
      - .offset:         0
        .size:           4
        .value_kind:     by_value
      - .offset:         4
        .size:           4
        .value_kind:     by_value
      - .offset:         8
        .size:           4
        .value_kind:     by_value
      - .offset:         12
        .size:           4
        .value_kind:     by_value
      - .offset:         16
        .size:           8
        .value_kind:     by_value
      - .actual_access:  read_only
        .address_space:  global
        .offset:         24
        .size:           8
        .value_kind:     global_buffer
      - .actual_access:  read_only
        .address_space:  global
        .offset:         32
        .size:           8
        .value_kind:     global_buffer
      - .actual_access:  read_only
        .address_space:  global
        .offset:         40
        .size:           8
        .value_kind:     global_buffer
      - .offset:         48
        .size:           4
        .value_kind:     by_value
      - .offset:         52
        .size:           4
        .value_kind:     by_value
      - .actual_access:  read_only
        .address_space:  global
        .offset:         56
        .size:           8
        .value_kind:     global_buffer
      - .offset:         64
        .size:           8
        .value_kind:     by_value
      - .offset:         72
        .size:           8
        .value_kind:     by_value
      - .address_space:  global
        .offset:         80
        .size:           8
        .value_kind:     global_buffer
      - .offset:         88
        .size:           8
        .value_kind:     by_value
      - .offset:         96
        .size:           4
        .value_kind:     by_value
      - .offset:         100
        .size:           1
        .value_kind:     by_value
    .group_segment_fixed_size: 640
    .kernarg_segment_align: 8
    .kernarg_segment_size: 104
    .language:       OpenCL C
    .language_version:
      - 2
      - 0
    .max_flat_workgroup_size: 64
    .name:           _ZN9rocsparseL29gebsrmm_small_blockdim_kernelILi1ELi4ELi4ELi16E21rocsparse_complex_numIfEEEv20rocsparse_direction_20rocsparse_operation_iiNS_24const_host_device_scalarIT3_EEPKiS9_PKS6_iiSB_lS7_PS6_l21rocsparse_index_base_b
    .private_segment_fixed_size: 0
    .sgpr_count:     26
    .sgpr_spill_count: 0
    .symbol:         _ZN9rocsparseL29gebsrmm_small_blockdim_kernelILi1ELi4ELi4ELi16E21rocsparse_complex_numIfEEEv20rocsparse_direction_20rocsparse_operation_iiNS_24const_host_device_scalarIT3_EEPKiS9_PKS6_iiSB_lS7_PS6_l21rocsparse_index_base_b.kd
    .uniform_work_group_size: 1
    .uses_dynamic_stack: false
    .vgpr_count:     36
    .vgpr_spill_count: 0
    .wavefront_size: 32
  - .args:
      - .offset:         0
        .size:           4
        .value_kind:     by_value
      - .offset:         4
        .size:           4
        .value_kind:     by_value
      - .offset:         8
        .size:           4
        .value_kind:     by_value
      - .offset:         12
        .size:           4
        .value_kind:     by_value
      - .offset:         16
        .size:           8
        .value_kind:     by_value
      - .actual_access:  read_only
        .address_space:  global
        .offset:         24
        .size:           8
        .value_kind:     global_buffer
      - .actual_access:  read_only
        .address_space:  global
        .offset:         32
        .size:           8
        .value_kind:     global_buffer
      - .actual_access:  read_only
        .address_space:  global
        .offset:         40
        .size:           8
        .value_kind:     global_buffer
      - .offset:         48
        .size:           4
        .value_kind:     by_value
      - .offset:         52
        .size:           4
        .value_kind:     by_value
      - .actual_access:  read_only
        .address_space:  global
        .offset:         56
        .size:           8
        .value_kind:     global_buffer
      - .offset:         64
        .size:           8
        .value_kind:     by_value
      - .offset:         72
        .size:           8
        .value_kind:     by_value
      - .address_space:  global
        .offset:         80
        .size:           8
        .value_kind:     global_buffer
      - .offset:         88
        .size:           8
        .value_kind:     by_value
      - .offset:         96
        .size:           4
        .value_kind:     by_value
      - .offset:         100
        .size:           1
        .value_kind:     by_value
    .group_segment_fixed_size: 288
    .kernarg_segment_align: 8
    .kernarg_segment_size: 104
    .language:       OpenCL C
    .language_version:
      - 2
      - 0
    .max_flat_workgroup_size: 32
    .name:           _ZN9rocsparseL29gebsrmm_small_blockdim_kernelILi2ELi1ELi2ELi16E21rocsparse_complex_numIfEEEv20rocsparse_direction_20rocsparse_operation_iiNS_24const_host_device_scalarIT3_EEPKiS9_PKS6_iiSB_lS7_PS6_l21rocsparse_index_base_b
    .private_segment_fixed_size: 0
    .sgpr_count:     26
    .sgpr_spill_count: 0
    .symbol:         _ZN9rocsparseL29gebsrmm_small_blockdim_kernelILi2ELi1ELi2ELi16E21rocsparse_complex_numIfEEEv20rocsparse_direction_20rocsparse_operation_iiNS_24const_host_device_scalarIT3_EEPKiS9_PKS6_iiSB_lS7_PS6_l21rocsparse_index_base_b.kd
    .uniform_work_group_size: 1
    .uses_dynamic_stack: false
    .vgpr_count:     24
    .vgpr_spill_count: 0
    .wavefront_size: 32
  - .args:
      - .offset:         0
        .size:           4
        .value_kind:     by_value
      - .offset:         4
        .size:           4
        .value_kind:     by_value
      - .offset:         8
        .size:           4
        .value_kind:     by_value
      - .offset:         12
        .size:           4
        .value_kind:     by_value
      - .offset:         16
        .size:           8
        .value_kind:     by_value
      - .actual_access:  read_only
        .address_space:  global
        .offset:         24
        .size:           8
        .value_kind:     global_buffer
      - .actual_access:  read_only
        .address_space:  global
        .offset:         32
        .size:           8
        .value_kind:     global_buffer
      - .actual_access:  read_only
        .address_space:  global
        .offset:         40
        .size:           8
        .value_kind:     global_buffer
      - .offset:         48
        .size:           4
        .value_kind:     by_value
      - .offset:         52
        .size:           4
        .value_kind:     by_value
      - .actual_access:  read_only
        .address_space:  global
        .offset:         56
        .size:           8
        .value_kind:     global_buffer
      - .offset:         64
        .size:           8
        .value_kind:     by_value
      - .offset:         72
        .size:           8
        .value_kind:     by_value
      - .address_space:  global
        .offset:         80
        .size:           8
        .value_kind:     global_buffer
      - .offset:         88
        .size:           8
        .value_kind:     by_value
      - .offset:         96
        .size:           4
        .value_kind:     by_value
      - .offset:         100
        .size:           1
        .value_kind:     by_value
    .group_segment_fixed_size: 456
    .kernarg_segment_align: 8
    .kernarg_segment_size: 104
    .language:       OpenCL C
    .language_version:
      - 2
      - 0
    .max_flat_workgroup_size: 48
    .name:           _ZN9rocsparseL29gebsrmm_small_blockdim_kernelILi2ELi3ELi3ELi16E21rocsparse_complex_numIfEEEv20rocsparse_direction_20rocsparse_operation_iiNS_24const_host_device_scalarIT3_EEPKiS9_PKS6_iiSB_lS7_PS6_l21rocsparse_index_base_b
    .private_segment_fixed_size: 0
    .sgpr_count:     28
    .sgpr_spill_count: 0
    .symbol:         _ZN9rocsparseL29gebsrmm_small_blockdim_kernelILi2ELi3ELi3ELi16E21rocsparse_complex_numIfEEEv20rocsparse_direction_20rocsparse_operation_iiNS_24const_host_device_scalarIT3_EEPKiS9_PKS6_iiSB_lS7_PS6_l21rocsparse_index_base_b.kd
    .uniform_work_group_size: 1
    .uses_dynamic_stack: false
    .vgpr_count:     32
    .vgpr_spill_count: 0
    .wavefront_size: 32
  - .args:
      - .offset:         0
        .size:           4
        .value_kind:     by_value
      - .offset:         4
        .size:           4
        .value_kind:     by_value
      - .offset:         8
        .size:           4
        .value_kind:     by_value
      - .offset:         12
        .size:           4
        .value_kind:     by_value
      - .offset:         16
        .size:           8
        .value_kind:     by_value
      - .actual_access:  read_only
        .address_space:  global
        .offset:         24
        .size:           8
        .value_kind:     global_buffer
      - .actual_access:  read_only
        .address_space:  global
        .offset:         32
        .size:           8
        .value_kind:     global_buffer
      - .actual_access:  read_only
        .address_space:  global
        .offset:         40
        .size:           8
        .value_kind:     global_buffer
      - .offset:         48
        .size:           4
        .value_kind:     by_value
      - .offset:         52
        .size:           4
        .value_kind:     by_value
      - .actual_access:  read_only
        .address_space:  global
        .offset:         56
        .size:           8
        .value_kind:     global_buffer
      - .offset:         64
        .size:           8
        .value_kind:     by_value
      - .offset:         72
        .size:           8
        .value_kind:     by_value
      - .address_space:  global
        .offset:         80
        .size:           8
        .value_kind:     global_buffer
      - .offset:         88
        .size:           8
        .value_kind:     by_value
      - .offset:         96
        .size:           4
        .value_kind:     by_value
      - .offset:         100
        .size:           1
        .value_kind:     by_value
    .group_segment_fixed_size: 640
    .kernarg_segment_align: 8
    .kernarg_segment_size: 104
    .language:       OpenCL C
    .language_version:
      - 2
      - 0
    .max_flat_workgroup_size: 64
    .name:           _ZN9rocsparseL29gebsrmm_small_blockdim_kernelILi2ELi4ELi4ELi16E21rocsparse_complex_numIfEEEv20rocsparse_direction_20rocsparse_operation_iiNS_24const_host_device_scalarIT3_EEPKiS9_PKS6_iiSB_lS7_PS6_l21rocsparse_index_base_b
    .private_segment_fixed_size: 0
    .sgpr_count:     28
    .sgpr_spill_count: 0
    .symbol:         _ZN9rocsparseL29gebsrmm_small_blockdim_kernelILi2ELi4ELi4ELi16E21rocsparse_complex_numIfEEEv20rocsparse_direction_20rocsparse_operation_iiNS_24const_host_device_scalarIT3_EEPKiS9_PKS6_iiSB_lS7_PS6_l21rocsparse_index_base_b.kd
    .uniform_work_group_size: 1
    .uses_dynamic_stack: false
    .vgpr_count:     36
    .vgpr_spill_count: 0
    .wavefront_size: 32
  - .args:
      - .offset:         0
        .size:           4
        .value_kind:     by_value
      - .offset:         4
        .size:           4
        .value_kind:     by_value
      - .offset:         8
        .size:           4
        .value_kind:     by_value
      - .offset:         12
        .size:           4
        .value_kind:     by_value
      - .offset:         16
        .size:           8
        .value_kind:     by_value
      - .actual_access:  read_only
        .address_space:  global
        .offset:         24
        .size:           8
        .value_kind:     global_buffer
      - .actual_access:  read_only
        .address_space:  global
        .offset:         32
        .size:           8
        .value_kind:     global_buffer
      - .actual_access:  read_only
        .address_space:  global
        .offset:         40
        .size:           8
        .value_kind:     global_buffer
      - .offset:         48
        .size:           4
        .value_kind:     by_value
      - .offset:         52
        .size:           4
        .value_kind:     by_value
      - .actual_access:  read_only
        .address_space:  global
        .offset:         56
        .size:           8
        .value_kind:     global_buffer
      - .offset:         64
        .size:           8
        .value_kind:     by_value
      - .offset:         72
        .size:           8
        .value_kind:     by_value
      - .address_space:  global
        .offset:         80
        .size:           8
        .value_kind:     global_buffer
      - .offset:         88
        .size:           8
        .value_kind:     by_value
      - .offset:         96
        .size:           4
        .value_kind:     by_value
      - .offset:         100
        .size:           1
        .value_kind:     by_value
    .group_segment_fixed_size: 456
    .kernarg_segment_align: 8
    .kernarg_segment_size: 104
    .language:       OpenCL C
    .language_version:
      - 2
      - 0
    .max_flat_workgroup_size: 48
    .name:           _ZN9rocsparseL29gebsrmm_small_blockdim_kernelILi3ELi1ELi3ELi16E21rocsparse_complex_numIfEEEv20rocsparse_direction_20rocsparse_operation_iiNS_24const_host_device_scalarIT3_EEPKiS9_PKS6_iiSB_lS7_PS6_l21rocsparse_index_base_b
    .private_segment_fixed_size: 0
    .sgpr_count:     26
    .sgpr_spill_count: 0
    .symbol:         _ZN9rocsparseL29gebsrmm_small_blockdim_kernelILi3ELi1ELi3ELi16E21rocsparse_complex_numIfEEEv20rocsparse_direction_20rocsparse_operation_iiNS_24const_host_device_scalarIT3_EEPKiS9_PKS6_iiSB_lS7_PS6_l21rocsparse_index_base_b.kd
    .uniform_work_group_size: 1
    .uses_dynamic_stack: false
    .vgpr_count:     24
    .vgpr_spill_count: 0
    .wavefront_size: 32
  - .args:
      - .offset:         0
        .size:           4
        .value_kind:     by_value
      - .offset:         4
        .size:           4
        .value_kind:     by_value
      - .offset:         8
        .size:           4
        .value_kind:     by_value
      - .offset:         12
        .size:           4
        .value_kind:     by_value
      - .offset:         16
        .size:           8
        .value_kind:     by_value
      - .actual_access:  read_only
        .address_space:  global
        .offset:         24
        .size:           8
        .value_kind:     global_buffer
      - .actual_access:  read_only
        .address_space:  global
        .offset:         32
        .size:           8
        .value_kind:     global_buffer
      - .actual_access:  read_only
        .address_space:  global
        .offset:         40
        .size:           8
        .value_kind:     global_buffer
      - .offset:         48
        .size:           4
        .value_kind:     by_value
      - .offset:         52
        .size:           4
        .value_kind:     by_value
      - .actual_access:  read_only
        .address_space:  global
        .offset:         56
        .size:           8
        .value_kind:     global_buffer
      - .offset:         64
        .size:           8
        .value_kind:     by_value
      - .offset:         72
        .size:           8
        .value_kind:     by_value
      - .address_space:  global
        .offset:         80
        .size:           8
        .value_kind:     global_buffer
      - .offset:         88
        .size:           8
        .value_kind:     by_value
      - .offset:         96
        .size:           4
        .value_kind:     by_value
      - .offset:         100
        .size:           1
        .value_kind:     by_value
    .group_segment_fixed_size: 456
    .kernarg_segment_align: 8
    .kernarg_segment_size: 104
    .language:       OpenCL C
    .language_version:
      - 2
      - 0
    .max_flat_workgroup_size: 48
    .name:           _ZN9rocsparseL29gebsrmm_small_blockdim_kernelILi3ELi2ELi3ELi16E21rocsparse_complex_numIfEEEv20rocsparse_direction_20rocsparse_operation_iiNS_24const_host_device_scalarIT3_EEPKiS9_PKS6_iiSB_lS7_PS6_l21rocsparse_index_base_b
    .private_segment_fixed_size: 0
    .sgpr_count:     28
    .sgpr_spill_count: 0
    .symbol:         _ZN9rocsparseL29gebsrmm_small_blockdim_kernelILi3ELi2ELi3ELi16E21rocsparse_complex_numIfEEEv20rocsparse_direction_20rocsparse_operation_iiNS_24const_host_device_scalarIT3_EEPKiS9_PKS6_iiSB_lS7_PS6_l21rocsparse_index_base_b.kd
    .uniform_work_group_size: 1
    .uses_dynamic_stack: false
    .vgpr_count:     28
    .vgpr_spill_count: 0
    .wavefront_size: 32
  - .args:
      - .offset:         0
        .size:           4
        .value_kind:     by_value
      - .offset:         4
        .size:           4
        .value_kind:     by_value
      - .offset:         8
        .size:           4
        .value_kind:     by_value
      - .offset:         12
        .size:           4
        .value_kind:     by_value
      - .offset:         16
        .size:           8
        .value_kind:     by_value
      - .actual_access:  read_only
        .address_space:  global
        .offset:         24
        .size:           8
        .value_kind:     global_buffer
      - .actual_access:  read_only
        .address_space:  global
        .offset:         32
        .size:           8
        .value_kind:     global_buffer
      - .actual_access:  read_only
        .address_space:  global
        .offset:         40
        .size:           8
        .value_kind:     global_buffer
      - .offset:         48
        .size:           4
        .value_kind:     by_value
      - .offset:         52
        .size:           4
        .value_kind:     by_value
      - .actual_access:  read_only
        .address_space:  global
        .offset:         56
        .size:           8
        .value_kind:     global_buffer
      - .offset:         64
        .size:           8
        .value_kind:     by_value
      - .offset:         72
        .size:           8
        .value_kind:     by_value
      - .address_space:  global
        .offset:         80
        .size:           8
        .value_kind:     global_buffer
      - .offset:         88
        .size:           8
        .value_kind:     by_value
      - .offset:         96
        .size:           4
        .value_kind:     by_value
      - .offset:         100
        .size:           1
        .value_kind:     by_value
    .group_segment_fixed_size: 640
    .kernarg_segment_align: 8
    .kernarg_segment_size: 104
    .language:       OpenCL C
    .language_version:
      - 2
      - 0
    .max_flat_workgroup_size: 64
    .name:           _ZN9rocsparseL29gebsrmm_small_blockdim_kernelILi3ELi4ELi4ELi16E21rocsparse_complex_numIfEEEv20rocsparse_direction_20rocsparse_operation_iiNS_24const_host_device_scalarIT3_EEPKiS9_PKS6_iiSB_lS7_PS6_l21rocsparse_index_base_b
    .private_segment_fixed_size: 0
    .sgpr_count:     28
    .sgpr_spill_count: 0
    .symbol:         _ZN9rocsparseL29gebsrmm_small_blockdim_kernelILi3ELi4ELi4ELi16E21rocsparse_complex_numIfEEEv20rocsparse_direction_20rocsparse_operation_iiNS_24const_host_device_scalarIT3_EEPKiS9_PKS6_iiSB_lS7_PS6_l21rocsparse_index_base_b.kd
    .uniform_work_group_size: 1
    .uses_dynamic_stack: false
    .vgpr_count:     36
    .vgpr_spill_count: 0
    .wavefront_size: 32
  - .args:
      - .offset:         0
        .size:           4
        .value_kind:     by_value
      - .offset:         4
        .size:           4
        .value_kind:     by_value
      - .offset:         8
        .size:           4
        .value_kind:     by_value
      - .offset:         12
        .size:           4
        .value_kind:     by_value
      - .offset:         16
        .size:           8
        .value_kind:     by_value
      - .actual_access:  read_only
        .address_space:  global
        .offset:         24
        .size:           8
        .value_kind:     global_buffer
      - .actual_access:  read_only
        .address_space:  global
        .offset:         32
        .size:           8
        .value_kind:     global_buffer
      - .actual_access:  read_only
        .address_space:  global
        .offset:         40
        .size:           8
        .value_kind:     global_buffer
      - .offset:         48
        .size:           4
        .value_kind:     by_value
      - .offset:         52
        .size:           4
        .value_kind:     by_value
      - .actual_access:  read_only
        .address_space:  global
        .offset:         56
        .size:           8
        .value_kind:     global_buffer
      - .offset:         64
        .size:           8
        .value_kind:     by_value
      - .offset:         72
        .size:           8
        .value_kind:     by_value
      - .address_space:  global
        .offset:         80
        .size:           8
        .value_kind:     global_buffer
      - .offset:         88
        .size:           8
        .value_kind:     by_value
      - .offset:         96
        .size:           4
        .value_kind:     by_value
      - .offset:         100
        .size:           1
        .value_kind:     by_value
    .group_segment_fixed_size: 640
    .kernarg_segment_align: 8
    .kernarg_segment_size: 104
    .language:       OpenCL C
    .language_version:
      - 2
      - 0
    .max_flat_workgroup_size: 64
    .name:           _ZN9rocsparseL29gebsrmm_small_blockdim_kernelILi4ELi1ELi4ELi16E21rocsparse_complex_numIfEEEv20rocsparse_direction_20rocsparse_operation_iiNS_24const_host_device_scalarIT3_EEPKiS9_PKS6_iiSB_lS7_PS6_l21rocsparse_index_base_b
    .private_segment_fixed_size: 0
    .sgpr_count:     26
    .sgpr_spill_count: 0
    .symbol:         _ZN9rocsparseL29gebsrmm_small_blockdim_kernelILi4ELi1ELi4ELi16E21rocsparse_complex_numIfEEEv20rocsparse_direction_20rocsparse_operation_iiNS_24const_host_device_scalarIT3_EEPKiS9_PKS6_iiSB_lS7_PS6_l21rocsparse_index_base_b.kd
    .uniform_work_group_size: 1
    .uses_dynamic_stack: false
    .vgpr_count:     24
    .vgpr_spill_count: 0
    .wavefront_size: 32
  - .args:
      - .offset:         0
        .size:           4
        .value_kind:     by_value
      - .offset:         4
        .size:           4
        .value_kind:     by_value
      - .offset:         8
        .size:           4
        .value_kind:     by_value
      - .offset:         12
        .size:           4
        .value_kind:     by_value
      - .offset:         16
        .size:           8
        .value_kind:     by_value
      - .actual_access:  read_only
        .address_space:  global
        .offset:         24
        .size:           8
        .value_kind:     global_buffer
      - .actual_access:  read_only
        .address_space:  global
        .offset:         32
        .size:           8
        .value_kind:     global_buffer
      - .actual_access:  read_only
        .address_space:  global
        .offset:         40
        .size:           8
        .value_kind:     global_buffer
      - .offset:         48
        .size:           4
        .value_kind:     by_value
      - .offset:         52
        .size:           4
        .value_kind:     by_value
      - .actual_access:  read_only
        .address_space:  global
        .offset:         56
        .size:           8
        .value_kind:     global_buffer
      - .offset:         64
        .size:           8
        .value_kind:     by_value
      - .offset:         72
        .size:           8
        .value_kind:     by_value
      - .address_space:  global
        .offset:         80
        .size:           8
        .value_kind:     global_buffer
      - .offset:         88
        .size:           8
        .value_kind:     by_value
      - .offset:         96
        .size:           4
        .value_kind:     by_value
      - .offset:         100
        .size:           1
        .value_kind:     by_value
    .group_segment_fixed_size: 640
    .kernarg_segment_align: 8
    .kernarg_segment_size: 104
    .language:       OpenCL C
    .language_version:
      - 2
      - 0
    .max_flat_workgroup_size: 64
    .name:           _ZN9rocsparseL29gebsrmm_small_blockdim_kernelILi4ELi2ELi4ELi16E21rocsparse_complex_numIfEEEv20rocsparse_direction_20rocsparse_operation_iiNS_24const_host_device_scalarIT3_EEPKiS9_PKS6_iiSB_lS7_PS6_l21rocsparse_index_base_b
    .private_segment_fixed_size: 0
    .sgpr_count:     28
    .sgpr_spill_count: 0
    .symbol:         _ZN9rocsparseL29gebsrmm_small_blockdim_kernelILi4ELi2ELi4ELi16E21rocsparse_complex_numIfEEEv20rocsparse_direction_20rocsparse_operation_iiNS_24const_host_device_scalarIT3_EEPKiS9_PKS6_iiSB_lS7_PS6_l21rocsparse_index_base_b.kd
    .uniform_work_group_size: 1
    .uses_dynamic_stack: false
    .vgpr_count:     28
    .vgpr_spill_count: 0
    .wavefront_size: 32
  - .args:
      - .offset:         0
        .size:           4
        .value_kind:     by_value
      - .offset:         4
        .size:           4
        .value_kind:     by_value
      - .offset:         8
        .size:           4
        .value_kind:     by_value
      - .offset:         12
        .size:           4
        .value_kind:     by_value
      - .offset:         16
        .size:           8
        .value_kind:     by_value
      - .actual_access:  read_only
        .address_space:  global
        .offset:         24
        .size:           8
        .value_kind:     global_buffer
      - .actual_access:  read_only
        .address_space:  global
        .offset:         32
        .size:           8
        .value_kind:     global_buffer
      - .actual_access:  read_only
        .address_space:  global
        .offset:         40
        .size:           8
        .value_kind:     global_buffer
      - .offset:         48
        .size:           4
        .value_kind:     by_value
      - .offset:         52
        .size:           4
        .value_kind:     by_value
      - .actual_access:  read_only
        .address_space:  global
        .offset:         56
        .size:           8
        .value_kind:     global_buffer
      - .offset:         64
        .size:           8
        .value_kind:     by_value
      - .offset:         72
        .size:           8
        .value_kind:     by_value
      - .address_space:  global
        .offset:         80
        .size:           8
        .value_kind:     global_buffer
      - .offset:         88
        .size:           8
        .value_kind:     by_value
      - .offset:         96
        .size:           4
        .value_kind:     by_value
      - .offset:         100
        .size:           1
        .value_kind:     by_value
    .group_segment_fixed_size: 640
    .kernarg_segment_align: 8
    .kernarg_segment_size: 104
    .language:       OpenCL C
    .language_version:
      - 2
      - 0
    .max_flat_workgroup_size: 64
    .name:           _ZN9rocsparseL29gebsrmm_small_blockdim_kernelILi4ELi3ELi4ELi16E21rocsparse_complex_numIfEEEv20rocsparse_direction_20rocsparse_operation_iiNS_24const_host_device_scalarIT3_EEPKiS9_PKS6_iiSB_lS7_PS6_l21rocsparse_index_base_b
    .private_segment_fixed_size: 0
    .sgpr_count:     28
    .sgpr_spill_count: 0
    .symbol:         _ZN9rocsparseL29gebsrmm_small_blockdim_kernelILi4ELi3ELi4ELi16E21rocsparse_complex_numIfEEEv20rocsparse_direction_20rocsparse_operation_iiNS_24const_host_device_scalarIT3_EEPKiS9_PKS6_iiSB_lS7_PS6_l21rocsparse_index_base_b.kd
    .uniform_work_group_size: 1
    .uses_dynamic_stack: false
    .vgpr_count:     32
    .vgpr_spill_count: 0
    .wavefront_size: 32
  - .args:
      - .offset:         0
        .size:           4
        .value_kind:     by_value
      - .offset:         4
        .size:           4
        .value_kind:     by_value
      - .offset:         8
        .size:           4
        .value_kind:     by_value
      - .offset:         12
        .size:           4
        .value_kind:     by_value
      - .offset:         16
        .size:           16
        .value_kind:     by_value
      - .actual_access:  read_only
        .address_space:  global
        .offset:         32
        .size:           8
        .value_kind:     global_buffer
      - .actual_access:  read_only
        .address_space:  global
        .offset:         40
        .size:           8
        .value_kind:     global_buffer
      - .actual_access:  read_only
        .address_space:  global
        .offset:         48
        .size:           8
        .value_kind:     global_buffer
      - .offset:         56
        .size:           4
        .value_kind:     by_value
      - .offset:         60
        .size:           4
        .value_kind:     by_value
      - .actual_access:  read_only
        .address_space:  global
        .offset:         64
        .size:           8
        .value_kind:     global_buffer
      - .offset:         72
        .size:           8
        .value_kind:     by_value
      - .offset:         80
        .size:           16
        .value_kind:     by_value
      - .address_space:  global
        .offset:         96
        .size:           8
        .value_kind:     global_buffer
      - .offset:         104
        .size:           8
        .value_kind:     by_value
      - .offset:         112
        .size:           4
        .value_kind:     by_value
      - .offset:         116
        .size:           1
        .value_kind:     by_value
    .group_segment_fixed_size: 576
    .kernarg_segment_align: 8
    .kernarg_segment_size: 120
    .language:       OpenCL C
    .language_version:
      - 2
      - 0
    .max_flat_workgroup_size: 32
    .name:           _ZN9rocsparseL29gebsrmm_small_blockdim_kernelILi1ELi2ELi2ELi16E21rocsparse_complex_numIdEEEv20rocsparse_direction_20rocsparse_operation_iiNS_24const_host_device_scalarIT3_EEPKiS9_PKS6_iiSB_lS7_PS6_l21rocsparse_index_base_b
    .private_segment_fixed_size: 0
    .sgpr_count:     26
    .sgpr_spill_count: 0
    .symbol:         _ZN9rocsparseL29gebsrmm_small_blockdim_kernelILi1ELi2ELi2ELi16E21rocsparse_complex_numIdEEEv20rocsparse_direction_20rocsparse_operation_iiNS_24const_host_device_scalarIT3_EEPKiS9_PKS6_iiSB_lS7_PS6_l21rocsparse_index_base_b.kd
    .uniform_work_group_size: 1
    .uses_dynamic_stack: false
    .vgpr_count:     44
    .vgpr_spill_count: 0
    .wavefront_size: 32
  - .args:
      - .offset:         0
        .size:           4
        .value_kind:     by_value
      - .offset:         4
        .size:           4
        .value_kind:     by_value
      - .offset:         8
        .size:           4
        .value_kind:     by_value
      - .offset:         12
        .size:           4
        .value_kind:     by_value
      - .offset:         16
        .size:           16
        .value_kind:     by_value
      - .actual_access:  read_only
        .address_space:  global
        .offset:         32
        .size:           8
        .value_kind:     global_buffer
      - .actual_access:  read_only
        .address_space:  global
        .offset:         40
        .size:           8
        .value_kind:     global_buffer
      - .actual_access:  read_only
        .address_space:  global
        .offset:         48
        .size:           8
        .value_kind:     global_buffer
      - .offset:         56
        .size:           4
        .value_kind:     by_value
      - .offset:         60
        .size:           4
        .value_kind:     by_value
      - .actual_access:  read_only
        .address_space:  global
        .offset:         64
        .size:           8
        .value_kind:     global_buffer
      - .offset:         72
        .size:           8
        .value_kind:     by_value
      - .offset:         80
        .size:           16
        .value_kind:     by_value
      - .address_space:  global
        .offset:         96
        .size:           8
        .value_kind:     global_buffer
      - .offset:         104
        .size:           8
        .value_kind:     by_value
      - .offset:         112
        .size:           4
        .value_kind:     by_value
      - .offset:         116
        .size:           1
        .value_kind:     by_value
    .group_segment_fixed_size: 912
    .kernarg_segment_align: 8
    .kernarg_segment_size: 120
    .language:       OpenCL C
    .language_version:
      - 2
      - 0
    .max_flat_workgroup_size: 48
    .name:           _ZN9rocsparseL29gebsrmm_small_blockdim_kernelILi1ELi3ELi3ELi16E21rocsparse_complex_numIdEEEv20rocsparse_direction_20rocsparse_operation_iiNS_24const_host_device_scalarIT3_EEPKiS9_PKS6_iiSB_lS7_PS6_l21rocsparse_index_base_b
    .private_segment_fixed_size: 0
    .sgpr_count:     26
    .sgpr_spill_count: 0
    .symbol:         _ZN9rocsparseL29gebsrmm_small_blockdim_kernelILi1ELi3ELi3ELi16E21rocsparse_complex_numIdEEEv20rocsparse_direction_20rocsparse_operation_iiNS_24const_host_device_scalarIT3_EEPKiS9_PKS6_iiSB_lS7_PS6_l21rocsparse_index_base_b.kd
    .uniform_work_group_size: 1
    .uses_dynamic_stack: false
    .vgpr_count:     44
    .vgpr_spill_count: 0
    .wavefront_size: 32
  - .args:
      - .offset:         0
        .size:           4
        .value_kind:     by_value
      - .offset:         4
        .size:           4
        .value_kind:     by_value
      - .offset:         8
        .size:           4
        .value_kind:     by_value
      - .offset:         12
        .size:           4
        .value_kind:     by_value
      - .offset:         16
        .size:           16
        .value_kind:     by_value
      - .actual_access:  read_only
        .address_space:  global
        .offset:         32
        .size:           8
        .value_kind:     global_buffer
      - .actual_access:  read_only
        .address_space:  global
        .offset:         40
        .size:           8
        .value_kind:     global_buffer
      - .actual_access:  read_only
        .address_space:  global
        .offset:         48
        .size:           8
        .value_kind:     global_buffer
      - .offset:         56
        .size:           4
        .value_kind:     by_value
      - .offset:         60
        .size:           4
        .value_kind:     by_value
      - .actual_access:  read_only
        .address_space:  global
        .offset:         64
        .size:           8
        .value_kind:     global_buffer
      - .offset:         72
        .size:           8
        .value_kind:     by_value
      - .offset:         80
        .size:           16
        .value_kind:     by_value
      - .address_space:  global
        .offset:         96
        .size:           8
        .value_kind:     global_buffer
      - .offset:         104
        .size:           8
        .value_kind:     by_value
      - .offset:         112
        .size:           4
        .value_kind:     by_value
      - .offset:         116
        .size:           1
        .value_kind:     by_value
    .group_segment_fixed_size: 1280
    .kernarg_segment_align: 8
    .kernarg_segment_size: 120
    .language:       OpenCL C
    .language_version:
      - 2
      - 0
    .max_flat_workgroup_size: 64
    .name:           _ZN9rocsparseL29gebsrmm_small_blockdim_kernelILi1ELi4ELi4ELi16E21rocsparse_complex_numIdEEEv20rocsparse_direction_20rocsparse_operation_iiNS_24const_host_device_scalarIT3_EEPKiS9_PKS6_iiSB_lS7_PS6_l21rocsparse_index_base_b
    .private_segment_fixed_size: 0
    .sgpr_count:     26
    .sgpr_spill_count: 0
    .symbol:         _ZN9rocsparseL29gebsrmm_small_blockdim_kernelILi1ELi4ELi4ELi16E21rocsparse_complex_numIdEEEv20rocsparse_direction_20rocsparse_operation_iiNS_24const_host_device_scalarIT3_EEPKiS9_PKS6_iiSB_lS7_PS6_l21rocsparse_index_base_b.kd
    .uniform_work_group_size: 1
    .uses_dynamic_stack: false
    .vgpr_count:     44
    .vgpr_spill_count: 0
    .wavefront_size: 32
  - .args:
      - .offset:         0
        .size:           4
        .value_kind:     by_value
      - .offset:         4
        .size:           4
        .value_kind:     by_value
      - .offset:         8
        .size:           4
        .value_kind:     by_value
      - .offset:         12
        .size:           4
        .value_kind:     by_value
      - .offset:         16
        .size:           16
        .value_kind:     by_value
      - .actual_access:  read_only
        .address_space:  global
        .offset:         32
        .size:           8
        .value_kind:     global_buffer
      - .actual_access:  read_only
        .address_space:  global
        .offset:         40
        .size:           8
        .value_kind:     global_buffer
      - .actual_access:  read_only
        .address_space:  global
        .offset:         48
        .size:           8
        .value_kind:     global_buffer
      - .offset:         56
        .size:           4
        .value_kind:     by_value
      - .offset:         60
        .size:           4
        .value_kind:     by_value
      - .actual_access:  read_only
        .address_space:  global
        .offset:         64
        .size:           8
        .value_kind:     global_buffer
      - .offset:         72
        .size:           8
        .value_kind:     by_value
      - .offset:         80
        .size:           16
        .value_kind:     by_value
      - .address_space:  global
        .offset:         96
        .size:           8
        .value_kind:     global_buffer
      - .offset:         104
        .size:           8
        .value_kind:     by_value
      - .offset:         112
        .size:           4
        .value_kind:     by_value
      - .offset:         116
        .size:           1
        .value_kind:     by_value
    .group_segment_fixed_size: 576
    .kernarg_segment_align: 8
    .kernarg_segment_size: 120
    .language:       OpenCL C
    .language_version:
      - 2
      - 0
    .max_flat_workgroup_size: 32
    .name:           _ZN9rocsparseL29gebsrmm_small_blockdim_kernelILi2ELi1ELi2ELi16E21rocsparse_complex_numIdEEEv20rocsparse_direction_20rocsparse_operation_iiNS_24const_host_device_scalarIT3_EEPKiS9_PKS6_iiSB_lS7_PS6_l21rocsparse_index_base_b
    .private_segment_fixed_size: 0
    .sgpr_count:     26
    .sgpr_spill_count: 0
    .symbol:         _ZN9rocsparseL29gebsrmm_small_blockdim_kernelILi2ELi1ELi2ELi16E21rocsparse_complex_numIdEEEv20rocsparse_direction_20rocsparse_operation_iiNS_24const_host_device_scalarIT3_EEPKiS9_PKS6_iiSB_lS7_PS6_l21rocsparse_index_base_b.kd
    .uniform_work_group_size: 1
    .uses_dynamic_stack: false
    .vgpr_count:     36
    .vgpr_spill_count: 0
    .wavefront_size: 32
  - .args:
      - .offset:         0
        .size:           4
        .value_kind:     by_value
      - .offset:         4
        .size:           4
        .value_kind:     by_value
      - .offset:         8
        .size:           4
        .value_kind:     by_value
      - .offset:         12
        .size:           4
        .value_kind:     by_value
      - .offset:         16
        .size:           16
        .value_kind:     by_value
      - .actual_access:  read_only
        .address_space:  global
        .offset:         32
        .size:           8
        .value_kind:     global_buffer
      - .actual_access:  read_only
        .address_space:  global
        .offset:         40
        .size:           8
        .value_kind:     global_buffer
      - .actual_access:  read_only
        .address_space:  global
        .offset:         48
        .size:           8
        .value_kind:     global_buffer
      - .offset:         56
        .size:           4
        .value_kind:     by_value
      - .offset:         60
        .size:           4
        .value_kind:     by_value
      - .actual_access:  read_only
        .address_space:  global
        .offset:         64
        .size:           8
        .value_kind:     global_buffer
      - .offset:         72
        .size:           8
        .value_kind:     by_value
      - .offset:         80
        .size:           16
        .value_kind:     by_value
      - .address_space:  global
        .offset:         96
        .size:           8
        .value_kind:     global_buffer
      - .offset:         104
        .size:           8
        .value_kind:     by_value
      - .offset:         112
        .size:           4
        .value_kind:     by_value
      - .offset:         116
        .size:           1
        .value_kind:     by_value
    .group_segment_fixed_size: 912
    .kernarg_segment_align: 8
    .kernarg_segment_size: 120
    .language:       OpenCL C
    .language_version:
      - 2
      - 0
    .max_flat_workgroup_size: 48
    .name:           _ZN9rocsparseL29gebsrmm_small_blockdim_kernelILi2ELi3ELi3ELi16E21rocsparse_complex_numIdEEEv20rocsparse_direction_20rocsparse_operation_iiNS_24const_host_device_scalarIT3_EEPKiS9_PKS6_iiSB_lS7_PS6_l21rocsparse_index_base_b
    .private_segment_fixed_size: 0
    .sgpr_count:     26
    .sgpr_spill_count: 0
    .symbol:         _ZN9rocsparseL29gebsrmm_small_blockdim_kernelILi2ELi3ELi3ELi16E21rocsparse_complex_numIdEEEv20rocsparse_direction_20rocsparse_operation_iiNS_24const_host_device_scalarIT3_EEPKiS9_PKS6_iiSB_lS7_PS6_l21rocsparse_index_base_b.kd
    .uniform_work_group_size: 1
    .uses_dynamic_stack: false
    .vgpr_count:     44
    .vgpr_spill_count: 0
    .wavefront_size: 32
  - .args:
      - .offset:         0
        .size:           4
        .value_kind:     by_value
      - .offset:         4
        .size:           4
        .value_kind:     by_value
      - .offset:         8
        .size:           4
        .value_kind:     by_value
      - .offset:         12
        .size:           4
        .value_kind:     by_value
      - .offset:         16
        .size:           16
        .value_kind:     by_value
      - .actual_access:  read_only
        .address_space:  global
        .offset:         32
        .size:           8
        .value_kind:     global_buffer
      - .actual_access:  read_only
        .address_space:  global
        .offset:         40
        .size:           8
        .value_kind:     global_buffer
      - .actual_access:  read_only
        .address_space:  global
        .offset:         48
        .size:           8
        .value_kind:     global_buffer
      - .offset:         56
        .size:           4
        .value_kind:     by_value
      - .offset:         60
        .size:           4
        .value_kind:     by_value
      - .actual_access:  read_only
        .address_space:  global
        .offset:         64
        .size:           8
        .value_kind:     global_buffer
      - .offset:         72
        .size:           8
        .value_kind:     by_value
      - .offset:         80
        .size:           16
        .value_kind:     by_value
      - .address_space:  global
        .offset:         96
        .size:           8
        .value_kind:     global_buffer
      - .offset:         104
        .size:           8
        .value_kind:     by_value
      - .offset:         112
        .size:           4
        .value_kind:     by_value
      - .offset:         116
        .size:           1
        .value_kind:     by_value
    .group_segment_fixed_size: 1280
    .kernarg_segment_align: 8
    .kernarg_segment_size: 120
    .language:       OpenCL C
    .language_version:
      - 2
      - 0
    .max_flat_workgroup_size: 64
    .name:           _ZN9rocsparseL29gebsrmm_small_blockdim_kernelILi2ELi4ELi4ELi16E21rocsparse_complex_numIdEEEv20rocsparse_direction_20rocsparse_operation_iiNS_24const_host_device_scalarIT3_EEPKiS9_PKS6_iiSB_lS7_PS6_l21rocsparse_index_base_b
    .private_segment_fixed_size: 0
    .sgpr_count:     26
    .sgpr_spill_count: 0
    .symbol:         _ZN9rocsparseL29gebsrmm_small_blockdim_kernelILi2ELi4ELi4ELi16E21rocsparse_complex_numIdEEEv20rocsparse_direction_20rocsparse_operation_iiNS_24const_host_device_scalarIT3_EEPKiS9_PKS6_iiSB_lS7_PS6_l21rocsparse_index_base_b.kd
    .uniform_work_group_size: 1
    .uses_dynamic_stack: false
    .vgpr_count:     44
    .vgpr_spill_count: 0
    .wavefront_size: 32
  - .args:
      - .offset:         0
        .size:           4
        .value_kind:     by_value
      - .offset:         4
        .size:           4
        .value_kind:     by_value
      - .offset:         8
        .size:           4
        .value_kind:     by_value
      - .offset:         12
        .size:           4
        .value_kind:     by_value
      - .offset:         16
        .size:           16
        .value_kind:     by_value
      - .actual_access:  read_only
        .address_space:  global
        .offset:         32
        .size:           8
        .value_kind:     global_buffer
      - .actual_access:  read_only
        .address_space:  global
        .offset:         40
        .size:           8
        .value_kind:     global_buffer
      - .actual_access:  read_only
        .address_space:  global
        .offset:         48
        .size:           8
        .value_kind:     global_buffer
      - .offset:         56
        .size:           4
        .value_kind:     by_value
      - .offset:         60
        .size:           4
        .value_kind:     by_value
      - .actual_access:  read_only
        .address_space:  global
        .offset:         64
        .size:           8
        .value_kind:     global_buffer
      - .offset:         72
        .size:           8
        .value_kind:     by_value
      - .offset:         80
        .size:           16
        .value_kind:     by_value
      - .address_space:  global
        .offset:         96
        .size:           8
        .value_kind:     global_buffer
      - .offset:         104
        .size:           8
        .value_kind:     by_value
      - .offset:         112
        .size:           4
        .value_kind:     by_value
      - .offset:         116
        .size:           1
        .value_kind:     by_value
    .group_segment_fixed_size: 912
    .kernarg_segment_align: 8
    .kernarg_segment_size: 120
    .language:       OpenCL C
    .language_version:
      - 2
      - 0
    .max_flat_workgroup_size: 48
    .name:           _ZN9rocsparseL29gebsrmm_small_blockdim_kernelILi3ELi1ELi3ELi16E21rocsparse_complex_numIdEEEv20rocsparse_direction_20rocsparse_operation_iiNS_24const_host_device_scalarIT3_EEPKiS9_PKS6_iiSB_lS7_PS6_l21rocsparse_index_base_b
    .private_segment_fixed_size: 0
    .sgpr_count:     26
    .sgpr_spill_count: 0
    .symbol:         _ZN9rocsparseL29gebsrmm_small_blockdim_kernelILi3ELi1ELi3ELi16E21rocsparse_complex_numIdEEEv20rocsparse_direction_20rocsparse_operation_iiNS_24const_host_device_scalarIT3_EEPKiS9_PKS6_iiSB_lS7_PS6_l21rocsparse_index_base_b.kd
    .uniform_work_group_size: 1
    .uses_dynamic_stack: false
    .vgpr_count:     36
    .vgpr_spill_count: 0
    .wavefront_size: 32
  - .args:
      - .offset:         0
        .size:           4
        .value_kind:     by_value
      - .offset:         4
        .size:           4
        .value_kind:     by_value
      - .offset:         8
        .size:           4
        .value_kind:     by_value
      - .offset:         12
        .size:           4
        .value_kind:     by_value
      - .offset:         16
        .size:           16
        .value_kind:     by_value
      - .actual_access:  read_only
        .address_space:  global
        .offset:         32
        .size:           8
        .value_kind:     global_buffer
      - .actual_access:  read_only
        .address_space:  global
        .offset:         40
        .size:           8
        .value_kind:     global_buffer
      - .actual_access:  read_only
        .address_space:  global
        .offset:         48
        .size:           8
        .value_kind:     global_buffer
      - .offset:         56
        .size:           4
        .value_kind:     by_value
      - .offset:         60
        .size:           4
        .value_kind:     by_value
      - .actual_access:  read_only
        .address_space:  global
        .offset:         64
        .size:           8
        .value_kind:     global_buffer
      - .offset:         72
        .size:           8
        .value_kind:     by_value
      - .offset:         80
        .size:           16
        .value_kind:     by_value
      - .address_space:  global
        .offset:         96
        .size:           8
        .value_kind:     global_buffer
      - .offset:         104
        .size:           8
        .value_kind:     by_value
      - .offset:         112
        .size:           4
        .value_kind:     by_value
      - .offset:         116
        .size:           1
        .value_kind:     by_value
    .group_segment_fixed_size: 912
    .kernarg_segment_align: 8
    .kernarg_segment_size: 120
    .language:       OpenCL C
    .language_version:
      - 2
      - 0
    .max_flat_workgroup_size: 48
    .name:           _ZN9rocsparseL29gebsrmm_small_blockdim_kernelILi3ELi2ELi3ELi16E21rocsparse_complex_numIdEEEv20rocsparse_direction_20rocsparse_operation_iiNS_24const_host_device_scalarIT3_EEPKiS9_PKS6_iiSB_lS7_PS6_l21rocsparse_index_base_b
    .private_segment_fixed_size: 0
    .sgpr_count:     26
    .sgpr_spill_count: 0
    .symbol:         _ZN9rocsparseL29gebsrmm_small_blockdim_kernelILi3ELi2ELi3ELi16E21rocsparse_complex_numIdEEEv20rocsparse_direction_20rocsparse_operation_iiNS_24const_host_device_scalarIT3_EEPKiS9_PKS6_iiSB_lS7_PS6_l21rocsparse_index_base_b.kd
    .uniform_work_group_size: 1
    .uses_dynamic_stack: false
    .vgpr_count:     44
    .vgpr_spill_count: 0
    .wavefront_size: 32
  - .args:
      - .offset:         0
        .size:           4
        .value_kind:     by_value
      - .offset:         4
        .size:           4
        .value_kind:     by_value
      - .offset:         8
        .size:           4
        .value_kind:     by_value
      - .offset:         12
        .size:           4
        .value_kind:     by_value
      - .offset:         16
        .size:           16
        .value_kind:     by_value
      - .actual_access:  read_only
        .address_space:  global
        .offset:         32
        .size:           8
        .value_kind:     global_buffer
      - .actual_access:  read_only
        .address_space:  global
        .offset:         40
        .size:           8
        .value_kind:     global_buffer
      - .actual_access:  read_only
        .address_space:  global
        .offset:         48
        .size:           8
        .value_kind:     global_buffer
      - .offset:         56
        .size:           4
        .value_kind:     by_value
      - .offset:         60
        .size:           4
        .value_kind:     by_value
      - .actual_access:  read_only
        .address_space:  global
        .offset:         64
        .size:           8
        .value_kind:     global_buffer
      - .offset:         72
        .size:           8
        .value_kind:     by_value
      - .offset:         80
        .size:           16
        .value_kind:     by_value
      - .address_space:  global
        .offset:         96
        .size:           8
        .value_kind:     global_buffer
      - .offset:         104
        .size:           8
        .value_kind:     by_value
      - .offset:         112
        .size:           4
        .value_kind:     by_value
      - .offset:         116
        .size:           1
        .value_kind:     by_value
    .group_segment_fixed_size: 1280
    .kernarg_segment_align: 8
    .kernarg_segment_size: 120
    .language:       OpenCL C
    .language_version:
      - 2
      - 0
    .max_flat_workgroup_size: 64
    .name:           _ZN9rocsparseL29gebsrmm_small_blockdim_kernelILi3ELi4ELi4ELi16E21rocsparse_complex_numIdEEEv20rocsparse_direction_20rocsparse_operation_iiNS_24const_host_device_scalarIT3_EEPKiS9_PKS6_iiSB_lS7_PS6_l21rocsparse_index_base_b
    .private_segment_fixed_size: 0
    .sgpr_count:     26
    .sgpr_spill_count: 0
    .symbol:         _ZN9rocsparseL29gebsrmm_small_blockdim_kernelILi3ELi4ELi4ELi16E21rocsparse_complex_numIdEEEv20rocsparse_direction_20rocsparse_operation_iiNS_24const_host_device_scalarIT3_EEPKiS9_PKS6_iiSB_lS7_PS6_l21rocsparse_index_base_b.kd
    .uniform_work_group_size: 1
    .uses_dynamic_stack: false
    .vgpr_count:     44
    .vgpr_spill_count: 0
    .wavefront_size: 32
  - .args:
      - .offset:         0
        .size:           4
        .value_kind:     by_value
      - .offset:         4
        .size:           4
        .value_kind:     by_value
      - .offset:         8
        .size:           4
        .value_kind:     by_value
      - .offset:         12
        .size:           4
        .value_kind:     by_value
      - .offset:         16
        .size:           16
        .value_kind:     by_value
      - .actual_access:  read_only
        .address_space:  global
        .offset:         32
        .size:           8
        .value_kind:     global_buffer
      - .actual_access:  read_only
        .address_space:  global
        .offset:         40
        .size:           8
        .value_kind:     global_buffer
      - .actual_access:  read_only
        .address_space:  global
        .offset:         48
        .size:           8
        .value_kind:     global_buffer
      - .offset:         56
        .size:           4
        .value_kind:     by_value
      - .offset:         60
        .size:           4
        .value_kind:     by_value
      - .actual_access:  read_only
        .address_space:  global
        .offset:         64
        .size:           8
        .value_kind:     global_buffer
      - .offset:         72
        .size:           8
        .value_kind:     by_value
      - .offset:         80
        .size:           16
        .value_kind:     by_value
      - .address_space:  global
        .offset:         96
        .size:           8
        .value_kind:     global_buffer
      - .offset:         104
        .size:           8
        .value_kind:     by_value
      - .offset:         112
        .size:           4
        .value_kind:     by_value
      - .offset:         116
        .size:           1
        .value_kind:     by_value
    .group_segment_fixed_size: 1280
    .kernarg_segment_align: 8
    .kernarg_segment_size: 120
    .language:       OpenCL C
    .language_version:
      - 2
      - 0
    .max_flat_workgroup_size: 64
    .name:           _ZN9rocsparseL29gebsrmm_small_blockdim_kernelILi4ELi1ELi4ELi16E21rocsparse_complex_numIdEEEv20rocsparse_direction_20rocsparse_operation_iiNS_24const_host_device_scalarIT3_EEPKiS9_PKS6_iiSB_lS7_PS6_l21rocsparse_index_base_b
    .private_segment_fixed_size: 0
    .sgpr_count:     26
    .sgpr_spill_count: 0
    .symbol:         _ZN9rocsparseL29gebsrmm_small_blockdim_kernelILi4ELi1ELi4ELi16E21rocsparse_complex_numIdEEEv20rocsparse_direction_20rocsparse_operation_iiNS_24const_host_device_scalarIT3_EEPKiS9_PKS6_iiSB_lS7_PS6_l21rocsparse_index_base_b.kd
    .uniform_work_group_size: 1
    .uses_dynamic_stack: false
    .vgpr_count:     36
    .vgpr_spill_count: 0
    .wavefront_size: 32
  - .args:
      - .offset:         0
        .size:           4
        .value_kind:     by_value
      - .offset:         4
        .size:           4
        .value_kind:     by_value
      - .offset:         8
        .size:           4
        .value_kind:     by_value
      - .offset:         12
        .size:           4
        .value_kind:     by_value
      - .offset:         16
        .size:           16
        .value_kind:     by_value
      - .actual_access:  read_only
        .address_space:  global
        .offset:         32
        .size:           8
        .value_kind:     global_buffer
      - .actual_access:  read_only
        .address_space:  global
        .offset:         40
        .size:           8
        .value_kind:     global_buffer
      - .actual_access:  read_only
        .address_space:  global
        .offset:         48
        .size:           8
        .value_kind:     global_buffer
      - .offset:         56
        .size:           4
        .value_kind:     by_value
      - .offset:         60
        .size:           4
        .value_kind:     by_value
      - .actual_access:  read_only
        .address_space:  global
        .offset:         64
        .size:           8
        .value_kind:     global_buffer
      - .offset:         72
        .size:           8
        .value_kind:     by_value
      - .offset:         80
        .size:           16
        .value_kind:     by_value
      - .address_space:  global
        .offset:         96
        .size:           8
        .value_kind:     global_buffer
      - .offset:         104
        .size:           8
        .value_kind:     by_value
      - .offset:         112
        .size:           4
        .value_kind:     by_value
      - .offset:         116
        .size:           1
        .value_kind:     by_value
    .group_segment_fixed_size: 1280
    .kernarg_segment_align: 8
    .kernarg_segment_size: 120
    .language:       OpenCL C
    .language_version:
      - 2
      - 0
    .max_flat_workgroup_size: 64
    .name:           _ZN9rocsparseL29gebsrmm_small_blockdim_kernelILi4ELi2ELi4ELi16E21rocsparse_complex_numIdEEEv20rocsparse_direction_20rocsparse_operation_iiNS_24const_host_device_scalarIT3_EEPKiS9_PKS6_iiSB_lS7_PS6_l21rocsparse_index_base_b
    .private_segment_fixed_size: 0
    .sgpr_count:     26
    .sgpr_spill_count: 0
    .symbol:         _ZN9rocsparseL29gebsrmm_small_blockdim_kernelILi4ELi2ELi4ELi16E21rocsparse_complex_numIdEEEv20rocsparse_direction_20rocsparse_operation_iiNS_24const_host_device_scalarIT3_EEPKiS9_PKS6_iiSB_lS7_PS6_l21rocsparse_index_base_b.kd
    .uniform_work_group_size: 1
    .uses_dynamic_stack: false
    .vgpr_count:     44
    .vgpr_spill_count: 0
    .wavefront_size: 32
  - .args:
      - .offset:         0
        .size:           4
        .value_kind:     by_value
      - .offset:         4
        .size:           4
        .value_kind:     by_value
      - .offset:         8
        .size:           4
        .value_kind:     by_value
      - .offset:         12
        .size:           4
        .value_kind:     by_value
      - .offset:         16
        .size:           16
        .value_kind:     by_value
      - .actual_access:  read_only
        .address_space:  global
        .offset:         32
        .size:           8
        .value_kind:     global_buffer
      - .actual_access:  read_only
        .address_space:  global
        .offset:         40
        .size:           8
        .value_kind:     global_buffer
      - .actual_access:  read_only
        .address_space:  global
        .offset:         48
        .size:           8
        .value_kind:     global_buffer
      - .offset:         56
        .size:           4
        .value_kind:     by_value
      - .offset:         60
        .size:           4
        .value_kind:     by_value
      - .actual_access:  read_only
        .address_space:  global
        .offset:         64
        .size:           8
        .value_kind:     global_buffer
      - .offset:         72
        .size:           8
        .value_kind:     by_value
      - .offset:         80
        .size:           16
        .value_kind:     by_value
      - .address_space:  global
        .offset:         96
        .size:           8
        .value_kind:     global_buffer
      - .offset:         104
        .size:           8
        .value_kind:     by_value
      - .offset:         112
        .size:           4
        .value_kind:     by_value
      - .offset:         116
        .size:           1
        .value_kind:     by_value
    .group_segment_fixed_size: 1280
    .kernarg_segment_align: 8
    .kernarg_segment_size: 120
    .language:       OpenCL C
    .language_version:
      - 2
      - 0
    .max_flat_workgroup_size: 64
    .name:           _ZN9rocsparseL29gebsrmm_small_blockdim_kernelILi4ELi3ELi4ELi16E21rocsparse_complex_numIdEEEv20rocsparse_direction_20rocsparse_operation_iiNS_24const_host_device_scalarIT3_EEPKiS9_PKS6_iiSB_lS7_PS6_l21rocsparse_index_base_b
    .private_segment_fixed_size: 0
    .sgpr_count:     26
    .sgpr_spill_count: 0
    .symbol:         _ZN9rocsparseL29gebsrmm_small_blockdim_kernelILi4ELi3ELi4ELi16E21rocsparse_complex_numIdEEEv20rocsparse_direction_20rocsparse_operation_iiNS_24const_host_device_scalarIT3_EEPKiS9_PKS6_iiSB_lS7_PS6_l21rocsparse_index_base_b.kd
    .uniform_work_group_size: 1
    .uses_dynamic_stack: false
    .vgpr_count:     44
    .vgpr_spill_count: 0
    .wavefront_size: 32
amdhsa.target:   amdgcn-amd-amdhsa--gfx1250
amdhsa.version:
  - 1
  - 2
...

	.end_amdgpu_metadata
